;; amdgpu-corpus repo=ROCm/aiter kind=harvested arch=n/a opt=n/a

/root/src/amdgpu-assembly/repos/ROCm__aiter/hsa/gfx950/fmha_v3_bwd/bwd_hd192_bf16_a32_rtne_psskddv.co:	file format elf64-amdgpu

Disassembly of section .text:

0000000000004000 <_ZN5aiter46fmha_bwd_hd192_bf16_a32_rtne_psskddv_recompileE>:
	s_and_b32 s1, s1, 0xffff                                   // 000000004000: 8601FF01 0000FFFF
	s_load_dwordx2 s[32:33], s[0:1], 0x0                       // 000000004008: C0060800 00000000
	s_load_dwordx2 s[36:37], s[0:1], 0x10                      // 000000004010: C0060900 00000010
	s_load_dwordx2 s[40:41], s[0:1], 0x20                      // 000000004018: C0060A00 00000020
	s_load_dwordx2 s[8:9], s[0:1], 0x30                        // 000000004020: C0060200 00000030
	s_load_dwordx2 s[12:13], s[0:1], 0x40                      // 000000004028: C0060300 00000040
	s_load_dwordx2 s[16:17], s[0:1], 0x50                      // 000000004030: C0060400 00000050
	s_load_dwordx2 s[20:21], s[0:1], 0x60                      // 000000004038: C0060500 00000060
	s_load_dwordx2 s[24:25], s[0:1], 0x70                      // 000000004040: C0060600 00000070
	s_load_dwordx2 s[28:29], s[0:1], 0x80                      // 000000004048: C0060700 00000080
	s_load_dword s47, s[0:1], 0x90                             // 000000004050: C0020BC0 00000090
	s_load_dword s48, s[0:1], 0xa0                             // 000000004058: C0020C00 000000A0
	s_load_dword s49, s[0:1], 0xb0                             // 000000004060: C0020C40 000000B0
	s_load_dword s74, s[0:1], 0xd0                             // 000000004068: C0021280 000000D0
	s_load_dword s75, s[0:1], 0xe0                             // 000000004070: C00212C0 000000E0
	s_load_dword s5, s[0:1], 0xf0                              // 000000004078: C0020140 000000F0
	s_load_dword s44, s[0:1], 0x100                            // 000000004080: C0020B00 00000100
	s_load_dword s76, s[0:1], 0x110                            // 000000004088: C0021300 00000110
	s_load_dword s77, s[0:1], 0x120                            // 000000004090: C0021340 00000120
	s_load_dword s6, s[0:1], 0x130                             // 000000004098: C0020180 00000130
	s_load_dword s52, s[0:1], 0x140                            // 0000000040A0: C0020D00 00000140
	s_load_dword s50, s[0:1], 0x150                            // 0000000040A8: C0020C80 00000150
	s_load_dword s96, s[0:1], 0x160                            // 0000000040B0: C0021800 00000160
	s_load_dword s98, s[0:1], 0x180                            // 0000000040B8: C0021880 00000180
	s_load_dword s86, s[0:1], 0x190                            // 0000000040C0: C0021580 00000190
	s_load_dword s87, s[0:1], 0x1a0                            // 0000000040C8: C00215C0 000001A0
	s_load_dword s7, s[0:1], 0x1b0                             // 0000000040D0: C00201C0 000001B0
	s_load_dword s88, s[0:1], 0x1c0                            // 0000000040D8: C0021600 000001C0
	s_load_dword s89, s[0:1], 0x1d0                            // 0000000040E0: C0021640 000001D0
	s_load_dword s51, s[0:1], 0x1e0                            // 0000000040E8: C0020CC0 000001E0
	s_load_dword s90, s[0:1], 0x1f0                            // 0000000040F0: C0021680 000001F0
	s_load_dword s91, s[0:1], 0x200                            // 0000000040F8: C00216C0 00000200
	s_load_dword s92, s[0:1], 0x210                            // 000000004100: C0021700 00000210
	s_load_dword s93, s[0:1], 0x220                            // 000000004108: C0021740 00000220
	s_load_dword s53, s[0:1], 0x230                            // 000000004110: C0020D40 00000230
	v_lshrrev_b32_e32 v1, 10, v0                               // 000000004118: 2002008A
	v_lshrrev_b32_e32 v2, 10, v1                               // 00000000411C: 2004028A
	v_and_b32_e32 v2, 0x3ff, v2                                // 000000004120: 260404FF 000003FF
	v_and_b32_e32 v1, 0x3ff, v1                                // 000000004128: 260202FF 000003FF
	v_and_b32_e32 v0, 0x3ff, v0                                // 000000004130: 260000FF 000003FF
	v_lshrrev_b32_e32 v3, 6, v0                                // 000000004138: 20060086
	v_and_b32_e32 v0, 63, v0                                   // 00000000413C: 260000BF
	s_mov_b32 s2, s2                                           // 000000004140: BE820002
	s_mov_b32 s3, s3                                           // 000000004144: BE830003
	s_mov_b32 s4, s4                                           // 000000004148: BE840004
	v_readfirstlane_b32 s46, v3                                // 00000000414C: 7E5C0503
	s_waitcnt lgkmcnt(0)                                       // 000000004150: BF8CC07F
	s_mov_b32 s11, 0x20000                                     // 000000004154: BE8B00FF 00020000
	s_mov_b32 s15, 0x20000                                     // 00000000415C: BE8F00FF 00020000
	s_mov_b32 s19, 0x20000                                     // 000000004164: BE9300FF 00020000
	s_mov_b32 s23, 0x20000                                     // 00000000416C: BE9700FF 00020000
	s_mov_b32 s27, 0x20000                                     // 000000004174: BE9B00FF 00020000
	s_mov_b32 s31, 0x20000                                     // 00000000417C: BE9F00FF 00020000
	s_mov_b32 s35, 0x20000                                     // 000000004184: BEA300FF 00020000
	s_mov_b32 s39, 0x20000                                     // 00000000418C: BEA700FF 00020000
	s_mov_b32 s43, 0x20000                                     // 000000004194: BEAB00FF 00020000
	s_and_b32 s9, s9, 0xffff                                   // 00000000419C: 8609FF09 0000FFFF
	s_and_b32 s13, s13, 0xffff                                 // 0000000041A4: 860DFF0D 0000FFFF
	s_and_b32 s17, s17, 0xffff                                 // 0000000041AC: 8611FF11 0000FFFF
	s_and_b32 s21, s21, 0xffff                                 // 0000000041B4: 8615FF15 0000FFFF
	s_and_b32 s25, s25, 0xffff                                 // 0000000041BC: 8619FF19 0000FFFF
	s_and_b32 s29, s29, 0xffff                                 // 0000000041C4: 861DFF1D 0000FFFF
	s_and_b32 s33, s33, 0xffff                                 // 0000000041CC: 8621FF21 0000FFFF
	s_and_b32 s37, s37, 0xffff                                 // 0000000041D4: 8625FF25 0000FFFF
	s_and_b32 s41, s41, 0xffff                                 // 0000000041DC: 8629FF29 0000FFFF
	s_or_b32 s9, s9, 0x40000                                   // 0000000041E4: 8709FF09 00040000
	s_or_b32 s13, s13, 0x40000                                 // 0000000041EC: 870DFF0D 00040000
	s_or_b32 s17, s17, 0x40000                                 // 0000000041F4: 8711FF11 00040000
	s_or_b32 s21, s21, 0x40000                                 // 0000000041FC: 8715FF15 00040000
	s_or_b32 s25, s25, 0x40000                                 // 000000004204: 8719FF19 00040000
	s_or_b32 s29, s29, 0x40000                                 // 00000000420C: 871DFF1D 00040000
	s_or_b32 s33, s33, 0x40000                                 // 000000004214: 8721FF21 00040000
	s_or_b32 s37, s37, 0x40000                                 // 00000000421C: 8725FF25 00040000
	s_or_b32 s41, s41, 0x40000                                 // 000000004224: 8729FF29 00040000
	v_accvgpr_write_b32 a143, 0                                // 00000000422C: D3D9408F 18000080
	v_mov_b32_e32 v213, 0                                      // 000000004234: 7FAA0280
	s_mov_b32 s78, s8                                          // 000000004238: BECE0008
	s_mov_b32 s80, s12                                         // 00000000423C: BED0000C
	s_mov_b32 s82, s16                                         // 000000004240: BED20010
	s_mov_b32 s84, s20                                         // 000000004244: BED40014
	s_mov_b32 s79, s9                                          // 000000004248: BECF0009
	s_mov_b32 s81, s13                                         // 00000000424C: BED1000D
	s_mov_b32 s83, s17                                         // 000000004250: BED30011
	s_mov_b32 s85, s21                                         // 000000004254: BED50015
	s_mov_b32 s71, s3                                          // 000000004258: BEC70003
	v_cvt_f32_u32_e32 v28, s44                                 // 00000000425C: 7E380C2C
	s_sub_i32 s60, 0, s44                                      // 000000004260: 81BC2C80
	v_rcp_iflag_f32_e32 v28, v28                               // 000000004264: 7E38471C
	s_nop 0                                                    // 000000004268: BF800000
	v_mul_f32_e32 v28, 0x4f7ffffe, v28                         // 00000000426C: 0A3838FF 4F7FFFFE
	v_cvt_u32_f32_e32 v28, v28                                 // 000000004274: 7E380F1C
	v_mul_lo_u32 v29, s60, v28                                 // 000000004278: D285001D 0002383C
	v_mul_hi_u32 v29, v28, v29                                 // 000000004280: D286001D 00023B1C
	v_add_u32_e32 v28, v28, v29                                // 000000004288: 68383B1C
	v_mul_hi_u32 v28, s71, v28                                 // 00000000428C: D286001C 00023847
	v_mul_lo_u32 v29, v28, s44                                 // 000000004294: D285001D 0000591C
	v_sub_u32_e32 v31, s71, v29                                // 00000000429C: 6A3E3A47
	v_add_u32_e32 v30, 1, v28                                  // 0000000042A0: 683C3881
	v_cmp_le_u32_e32 vcc, s44, v31                             // 0000000042A4: 7D963E2C
	v_subrev_u32_e32 v29, s44, v31                             // 0000000042A8: 6C3A3E2C
	s_nop 0                                                    // 0000000042AC: BF800000
	v_cndmask_b32_e32 v28, v28, v30, vcc                       // 0000000042B0: 00383D1C
	v_cndmask_b32_e32 v31, v31, v29, vcc                       // 0000000042B4: 003E3B1F
	v_add_u32_e32 v29, 1, v28                                  // 0000000042B8: 683A3881
	v_cmp_le_u32_e32 vcc, s44, v31                             // 0000000042BC: 7D963E2C
	s_nop 1                                                    // 0000000042C0: BF800001
	v_cndmask_b32_e32 v31, v28, v29, vcc                       // 0000000042C4: 003E3B1C
	s_nop 3                                                    // 0000000042C8: BF800003
	v_readfirstlane_b32 s45, v31                               // 0000000042CC: 7E5A051F
	s_nop 3                                                    // 0000000042D0: BF800003
	v_mov_b32_e32 v28, s47                                     // 0000000042D4: 7E38022F
	v_mul_f32_e32 v28, s48, v28                                // 0000000042D8: 0A383830
	s_mov_b32 s66, 0                                           // 0000000042DC: BEC20080
	s_mov_b32 s58, s49                                         // 0000000042E0: BEBA0031
	s_mov_b32 s59, 0                                           // 0000000042E4: BEBB0080
	s_mov_b32 s63, 0x5040100                                   // 0000000042E8: BEBF00FF 05040100
	s_mov_b32 s64, 0x7060302                                   // 0000000042F0: BEC000FF 07060302
	v_readfirstlane_b32 s57, v28                               // 0000000042F8: 7E72051C
	v_mov_b32_e32 v30, 0x3020706                               // 0000000042FC: 7E3C02FF 03020706
	v_mov_b32_e32 v28, s63                                     // 000000004304: 7E38023F
	v_and_b32_e32 v29, 1, v0                                   // 000000004308: 263A0081
	v_cmp_eq_u32_e32 vcc, 1, v29                               // 00000000430C: 7D943A81
	s_mul_i32 s60, s96, 64                                     // 000000004310: 923CC060
	s_mov_b32 s67, s60                                         // 000000004314: BEC3003C
	v_cndmask_b32_e32 v15, v28, v30, vcc                       // 000000004318: 001E3D1C
	v_mov_b32_e32 v159, 0xff800000                             // 00000000431C: 7F3E02FF FF800000
	s_mul_i32 s68, 4, s5                                       // 000000004324: 92440584
	s_mul_i32 s97, 4, s51                                      // 000000004328: 92613384
	s_mov_b32 s69, 16                                          // 00000000432C: BEC50090
	s_mul_i32 s60, s6, 64                                      // 000000004330: 923CC006
	s_mul_i32 s60, s2, s60                                     // 000000004334: 923C3C02
	s_mul_i32 s61, s45, s76                                    // 000000004338: 923D4C2D
	s_add_u32 s54, s60, s61                                    // 00000000433C: 80363D3C
	s_mul_i32 s60, s2, 64                                      // 000000004340: 923CC002
	s_sub_i32 s60, s50, s60                                    // 000000004344: 81BC3C32
	s_mul_i32 s60, s6, s60                                     // 000000004348: 923C3C06
	s_lshr_b32 s60, s60, 2                                     // 00000000434C: 8F3C823C
	s_mov_b32 s14, s60                                         // 000000004350: BE8E003C
	s_add_u32 s12, s54, s80                                    // 000000004354: 800C5036
	s_addc_u32 s13, 0, s81                                     // 000000004358: 820D5180
	s_mul_i32 s60, s4, s77                                     // 00000000435C: 923C4D04
	s_mul_hi_u32 s61, s4, s77                                  // 000000004360: 963D4D04
	s_and_b32 s61, s61, 0xffff                                 // 000000004364: 863DFF3D 0000FFFF
	s_add_u32 s12, s12, s60                                    // 00000000436C: 800C3C0C
	s_addc_u32 s13, s13, s61                                   // 000000004370: 820D3D0D
	s_mul_i32 s60, s7, 64                                      // 000000004374: 923CC007
	s_mul_i32 s60, s2, s60                                     // 000000004378: 923C3C02
	s_mul_i32 s61, s45, s86                                    // 00000000437C: 923D562D
	s_add_u32 s54, s60, s61                                    // 000000004380: 80363D3C
	s_mul_i32 s60, s2, 64                                      // 000000004384: 923CC002
	s_sub_i32 s60, s50, s60                                    // 000000004388: 81BC3C32
	s_mul_i32 s60, s7, s60                                     // 00000000438C: 923C3C07
	s_lshr_b32 s60, s60, 2                                     // 000000004390: 8F3C823C
	s_mov_b32 s18, s60                                         // 000000004394: BE92003C
	s_add_u32 s16, s54, s82                                    // 000000004398: 80105236
	s_addc_u32 s17, 0, s83                                     // 00000000439C: 82115380
	s_mul_i32 s60, s4, s87                                     // 0000000043A0: 923C5704
	s_mul_hi_u32 s61, s4, s87                                  // 0000000043A4: 963D5704
	s_and_b32 s61, s61, 0xffff                                 // 0000000043A8: 863DFF3D 0000FFFF
	s_add_u32 s16, s16, s60                                    // 0000000043B0: 80103C10
	s_addc_u32 s17, s17, s61                                   // 0000000043B4: 82113D11
	s_mul_i32 s61, s3, s74                                     // 0000000043B8: 923D4A03
	s_mov_b32 s55, s61                                         // 0000000043BC: BEB7003D
	s_mul_i32 s60, s5, s49                                     // 0000000043C0: 923C3105
	s_lshr_b32 s60, s60, 2                                     // 0000000043C4: 8F3C823C
	s_mov_b32 s10, s60                                         // 0000000043C8: BE8A003C
	s_add_u32 s8, s55, s78                                     // 0000000043CC: 80084E37
	s_addc_u32 s9, 0, s79                                      // 0000000043D0: 82094F80
	s_mul_i32 s60, s4, s75                                     // 0000000043D4: 923C4B04
	s_mul_hi_u32 s61, s4, s75                                  // 0000000043D8: 963D4B04
	s_and_b32 s61, s61, 0xffff                                 // 0000000043DC: 863DFF3D 0000FFFF
	s_add_u32 s8, s8, s60                                      // 0000000043E4: 80083C08
	s_addc_u32 s9, s9, s61                                     // 0000000043E8: 82093D09
	s_mul_i32 s61, s3, s88                                     // 0000000043EC: 923D5803
	s_mov_b32 s56, s61                                         // 0000000043F0: BEB8003D
	s_mul_i32 s60, s51, s49                                    // 0000000043F4: 923C3133
	s_lshr_b32 s60, s60, 2                                     // 0000000043F8: 8F3C823C
	s_mov_b32 s22, s60                                         // 0000000043FC: BE96003C
	s_add_u32 s20, s56, s84                                    // 000000004400: 80145438
	s_addc_u32 s21, 0, s85                                     // 000000004404: 82155580
	s_mul_i32 s60, s4, s89                                     // 000000004408: 923C5904
	s_mul_hi_u32 s61, s4, s89                                  // 00000000440C: 963D5904
	s_and_b32 s61, s61, 0xffff                                 // 000000004410: 863DFF3D 0000FFFF
	s_add_u32 s20, s20, s60                                    // 000000004418: 80143C14
	s_addc_u32 s21, s21, s61                                   // 00000000441C: 82153D15
	s_mul_i32 s62, s4, s98                                     // 000000004420: 923E6204
	s_mul_i32 s62, s62, s49                                    // 000000004424: 923E313E
	s_lshl_b32 s62, s62, 2                                     // 000000004428: 8E3E823E
	s_mul_i32 s61, s3, s49                                     // 00000000442C: 923D3103
	s_mul_i32 s61, 4, s61                                      // 000000004430: 923D3D84
	s_add_u32 s65, s61, s62                                    // 000000004434: 80413E3D
	s_mul_i32 s60, 4, s49                                      // 000000004438: 923C3184
	s_add_u32 s60, s60, s61                                    // 00000000443C: 803C3D3C
	s_add_u32 s60, s60, s62                                    // 000000004440: 803C3E3C
	s_lshr_b32 s60, s60, 2                                     // 000000004444: 8F3C823C
	s_mov_b32 s26, s60                                         // 000000004448: BE9A003C
	s_mov_b32 s30, s60                                         // 00000000444C: BE9E003C
	s_cmp_lt_u32 s46, 2                                        // 000000004450: BF0A822E
	s_cselect_b32 s24, s24, s28                                // 000000004454: 85181C18
	s_cselect_b32 s25, s25, s29                                // 000000004458: 85191D19
	s_cselect_b32 s26, s26, s30                                // 00000000445C: 851A1E1A
	s_cselect_b32 s27, s27, s31                                // 000000004460: 851B1F1B
	s_mov_b32 s71, s6                                          // 000000004464: BEC70006
	v_lshrrev_b32_e32 v28, 4, v0                               // 000000004468: 20380084
	v_and_b32_e32 v29, 1, v28                                  // 00000000446C: 263A3881
	v_lshlrev_b32_e32 v29, 1, v29                              // 000000004470: 243A3A81
	v_mul_i32_i24_e32 v29, s71, v29                            // 000000004474: 0C3A3A47
	v_and_b32_e32 v30, 2, v28                                  // 000000004478: 263C3882
	v_lshlrev_b32_e32 v30, 5, v30                              // 00000000447C: 243C3C85
	v_add_u32_e32 v29, v30, v29                                // 000000004480: 683A3B1E
	v_and_b32_e32 v28, 15, v0                                  // 000000004484: 2638008F
	v_lshlrev_b32_e32 v28, 2, v28                              // 000000004488: 24383882
	v_add_u32_e32 v1, v28, v29                                 // 00000000448C: 68023B1C
	s_mul_i32 s60, s46, s71                                    // 000000004490: 923C472E
	s_mul_i32 s60, s60, 4                                      // 000000004494: 923C843C
	v_add_u32_e32 v1, s60, v1                                  // 000000004498: 6802023C
	v_add_u32_e32 v2, s71, v1                                  // 00000000449C: 68040247
	s_mov_b32 s71, s7                                          // 0000000044A0: BEC70007
	v_lshrrev_b32_e32 v28, 4, v0                               // 0000000044A4: 20380084
	v_and_b32_e32 v29, 1, v28                                  // 0000000044A8: 263A3881
	v_lshlrev_b32_e32 v29, 1, v29                              // 0000000044AC: 243A3A81
	v_mul_i32_i24_e32 v29, s71, v29                            // 0000000044B0: 0C3A3A47
	v_and_b32_e32 v30, 2, v28                                  // 0000000044B4: 263C3882
	v_lshlrev_b32_e32 v30, 5, v30                              // 0000000044B8: 243C3C85
	v_add_u32_e32 v29, v30, v29                                // 0000000044BC: 683A3B1E
	v_and_b32_e32 v28, 15, v0                                  // 0000000044C0: 2638008F
	v_lshlrev_b32_e32 v28, 2, v28                              // 0000000044C4: 24383882
	v_add_u32_e32 v212, v28, v29                               // 0000000044C8: 69A83B1C
	s_mul_i32 s60, s46, s71                                    // 0000000044CC: 923C472E
	s_mul_i32 s60, s60, 4                                      // 0000000044D0: 923C843C
	v_add_u32_e32 v212, s60, v212                              // 0000000044D4: 69A9A83C
	v_add_u32_e32 v213, s71, v212                              // 0000000044D8: 69ABA847
	v_lshrrev_b32_e32 v1, 2, v1                                // 0000000044DC: 20020282
	v_lshrrev_b32_e32 v2, 2, v2                                // 0000000044E0: 20040482
	v_lshrrev_b32_e32 v212, 2, v212                            // 0000000044E4: 21A9A882
	v_lshrrev_b32_e32 v213, 2, v213                            // 0000000044E8: 21ABAA82
	v_and_b32_e32 v9, 15, v0                                   // 0000000044EC: 2612008F
	v_lshlrev_b32_e32 v9, 2, v9                                // 0000000044F0: 24121282
	v_add_u32_e32 v9, s65, v9                                  // 0000000044F4: 68121241
	v_lshrrev_b32_e32 v9, 2, v9                                // 0000000044F8: 20121282
	s_mov_b32 s70, s52                                         // 0000000044FC: BEC60034
	v_lshrrev_b32_e32 v28, 3, v0                               // 000000004500: 20380083
	v_mul_i32_i24_e32 v3, s70, v28                             // 000000004504: 0C063846
	v_lshrrev_b32_e32 v3, 2, v3                                // 000000004508: 20060682
	v_and_b32_e32 v28, 7, v0                                   // 00000000450C: 26380087
	v_lshlrev_b32_e32 v29, 2, v28                              // 000000004510: 243A3882
	v_add_u32_e32 v3, v29, v3                                  // 000000004514: 6806071D
	s_mul_i32 s60, 16, s70                                     // 000000004518: 923C4690
	s_mul_i32 s60, s46, s60                                    // 00000000451C: 923C3C2E
	v_lshlrev_b32_e32 v3, 2, v3                                // 000000004520: 24060682
	v_add_u32_e32 v3, s60, v3                                  // 000000004524: 6806063C
	s_mul_i32 s60, 8, s70                                      // 000000004528: 923C4688
	v_add_u32_e32 v4, s60, v3                                  // 00000000452C: 6808063C
	s_mul_i32 s60, 64, s52                                     // 000000004530: 923C34C0
	s_mul_i32 s60, s2, s60                                     // 000000004534: 923C3C02
	s_mul_i32 s61, s3, s90                                     // 000000004538: 923D5A03
	s_mul_i32 s62, s4, s91                                     // 00000000453C: 923E5B04
	s_add_u32 s60, s60, s61                                    // 000000004540: 803C3D3C
	v_add_u32_e32 v3, s60, v3                                  // 000000004544: 6806063C
	v_lshrrev_b32_e32 v3, 2, v3                                // 000000004548: 20060682
	v_add_u32_e32 v4, s60, v4                                  // 00000000454C: 6808083C
	v_lshrrev_b32_e32 v4, 2, v4                                // 000000004550: 20080882
	s_mul_i32 s60, s50, s52                                    // 000000004554: 923C3432
	s_add_u32 s60, s60, s61                                    // 000000004558: 803C3D3C
	s_lshr_b32 s60, s60, 2                                     // 00000000455C: 8F3C823C
	s_mov_b32 s38, s60                                         // 000000004560: BEA6003C
	s_mul_hi_u32 s60, s4, s91                                  // 000000004564: 963C5B04
	s_and_b32 s60, s60, 0xffff                                 // 000000004568: 863CFF3C 0000FFFF
	s_add_u32 s36, s62, s36                                    // 000000004570: 8024243E
	s_addc_u32 s37, s60, s37                                   // 000000004574: 8225253C
	s_mov_b32 s70, s53                                         // 000000004578: BEC60035
	v_lshrrev_b32_e32 v28, 3, v0                               // 00000000457C: 20380083
	v_mul_i32_i24_e32 v5, s70, v28                             // 000000004580: 0C0A3846
	v_lshrrev_b32_e32 v5, 2, v5                                // 000000004584: 200A0A82
	v_and_b32_e32 v28, 7, v0                                   // 000000004588: 26380087
	v_lshlrev_b32_e32 v29, 2, v28                              // 00000000458C: 243A3882
	v_add_u32_e32 v5, v29, v5                                  // 000000004590: 680A0B1D
	s_mul_i32 s60, 16, s70                                     // 000000004594: 923C4690
	s_mul_i32 s60, s46, s60                                    // 000000004598: 923C3C2E
	v_lshlrev_b32_e32 v5, 2, v5                                // 00000000459C: 240A0A82
	v_add_u32_e32 v5, s60, v5                                  // 0000000045A0: 680A0A3C
	s_mul_i32 s60, 8, s70                                      // 0000000045A4: 923C4688
	v_add_u32_e32 v6, s60, v5                                  // 0000000045A8: 680C0A3C
	s_mul_i32 s60, 64, s53                                     // 0000000045AC: 923C35C0
	s_mul_i32 s60, s2, s60                                     // 0000000045B0: 923C3C02
	s_mul_i32 s61, s3, s92                                     // 0000000045B4: 923D5C03
	s_mul_i32 s62, s4, s93                                     // 0000000045B8: 923E5D04
	s_add_u32 s60, s60, s61                                    // 0000000045BC: 803C3D3C
	v_add_u32_e32 v5, s60, v5                                  // 0000000045C0: 680A0A3C
	v_lshrrev_b32_e32 v5, 2, v5                                // 0000000045C4: 200A0A82
	v_add_u32_e32 v6, s60, v6                                  // 0000000045C8: 680C0C3C
	v_lshrrev_b32_e32 v6, 2, v6                                // 0000000045CC: 200C0C82
	s_mul_i32 s60, s50, s53                                    // 0000000045D0: 923C3532
	s_add_u32 s60, s60, s61                                    // 0000000045D4: 803C3D3C
	s_lshr_b32 s60, s60, 2                                     // 0000000045D8: 8F3C823C
	s_mov_b32 s42, s60                                         // 0000000045DC: BEAA003C
	s_mul_hi_u32 s60, s4, s93                                  // 0000000045E0: 963C5D04
	s_and_b32 s60, s60, 0xffff                                 // 0000000045E4: 863CFF3C 0000FFFF
	s_add_u32 s40, s62, s40                                    // 0000000045EC: 8028283E
	s_addc_u32 s41, s60, s41                                   // 0000000045F0: 8229293C
	v_lshrrev_b32_e32 v28, 5, v0                               // 0000000045F4: 20380085
	v_mul_i32_i24_e64 v29, s96, 2                              // 0000000045F8: D106001D 00010460
	v_mul_i32_i24_e32 v7, v29, v28                             // 000000004600: 0C0E391D
	v_and_b32_e32 v28, 31, v0                                  // 000000004604: 2638009F
	v_add_u32_e32 v7, v28, v7                                  // 000000004608: 680E0F1C
	s_mul_i32 s60, 4, s96                                      // 00000000460C: 923C6084
	s_mul_i32 s60, s46, s60                                    // 000000004610: 923C3C2E
	v_add_u32_e32 v7, s60, v7                                  // 000000004614: 680E0E3C
	v_lshlrev_b32_e32 v7, 2, v7                                // 000000004618: 240E0E82
	v_mul_i32_i24_e32 v29, 2, v29                              // 00000000461C: 0C3A3A82
	v_add_u32_e32 v8, v29, v7                                  // 000000004620: 68100F1D
	s_mul_i32 s72, s96, s65                                    // 000000004624: 92484160
	s_mul_hi_u32 s62, s96, s65                                 // 000000004628: 963E4160
	s_and_b32 s62, s62, 0xffff                                 // 00000000462C: 863EFF3E 0000FFFF
	s_add_u32 s32, s72, s32                                    // 000000004634: 80202048
	s_addc_u32 s33, s62, s33                                   // 000000004638: 8221213E
	s_mul_i32 s60, s96, s49                                    // 00000000463C: 923C3160
	s_lshl_b32 s60, s60, 2                                     // 000000004640: 8E3C823C
	s_mov_b32 s34, s60                                         // 000000004644: BEA2003C
	v_mov_b32_e32 v209, 0xffff0000                             // 000000004648: 7FA202FF FFFF0000
	v_mov_b32_e32 v210, 0x7fff0000                             // 000000004650: 7FA402FF 7FFF0000
	v_mov_b32_e32 v211, 0x7fff                                 // 000000004658: 7FA602FF 00007FFF
	s_mul_i32 s60, 64, s2                                      // 000000004660: 923C02C0
	s_sub_i32 s99, s50, s60                                    // 000000004664: 81E33C32
	s_lshr_b32 s60, s46, 1                                     // 000000004668: 8F3C812E
	s_lshl_b32 s60, s60, 8                                     // 00000000466C: 8E3C883C
	s_add_u32 s76, 0x9f00, s60                                 // 000000004670: 804C3CFF 00009F00
	s_add_u32 s77, 0x200, s76                                  // 000000004678: 804D4CFF 00000200
	s_mov_b32 m0, s76                                          // 000000004680: BEFC004C
	v_lshrrev_b32_e32 v28, 2, v0                               // 000000004684: 20380082
	v_and_b32_e32 v29, 3, v28                                  // 000000004688: 263A3883
	v_lshrrev_b32_e32 v30, 3, v28                              // 00000000468C: 203C3883
	v_lshlrev_b32_e32 v30, 2, v30                              // 000000004690: 243C3C82
	v_add_u32_e32 v28, v30, v29                                // 000000004694: 68383B1E
	v_mov_b32_e32 v30, s96                                     // 000000004698: 7E3C0260
	v_mov_b32_e32 v29, 0x80                                    // 00000000469C: 7E3A02FF 00000080
	v_sub_u32_e32 v30, v30, v29                                // 0000000046A4: 6A3C3B1E
	v_lshrrev_b32_e32 v30, 3, v30                              // 0000000046A8: 203C3C83
	v_cmp_lt_u32_e64 s[88:89], v28, v30                        // 0000000046AC: D0C90058 00023D1C
	s_mov_b32 s86, -1                                          // 0000000046B4: BED600C1
	s_mov_b32 s87, -1                                          // 0000000046B8: BED700C1
	v_and_b32_e32 v28, 7, v0                                   // 0000000046BC: 26380087
	v_mov_b32_e32 v29, s96                                     // 0000000046C0: 7E3A0260
	v_mov_b32_e32 v30, 0x80                                    // 0000000046C4: 7E3C02FF 00000080
	v_sub_u32_e32 v29, v29, v30                                // 0000000046CC: 6A3A3D1D
	v_lshrrev_b32_e32 v29, 3, v29                              // 0000000046D0: 203A3A83
	v_cmp_lt_u32_e64 s[90:91], v28, v29                        // 0000000046D4: D0C9005A 00023B1C
	v_and_b32_e32 v28, 31, v0                                  // 0000000046DC: 2638009F
	v_lshrrev_b32_e32 v28, 3, v28                              // 0000000046E0: 20383883
	v_mov_b32_e32 v29, s96                                     // 0000000046E4: 7E3A0260
	v_mov_b32_e32 v30, 0x80                                    // 0000000046E8: 7E3C02FF 00000080
	v_sub_u32_e32 v29, v29, v30                                // 0000000046F0: 6A3A3D1D
	v_lshrrev_b32_e32 v29, 3, v29                              // 0000000046F4: 203A3A83
	v_cmp_lt_u32_e64 s[92:93], v28, v29                        // 0000000046F8: D0C9005C 00023B1C
	v_add_u32_e32 v28, 4, v28                                  // 000000004700: 68383884
	v_cmp_lt_u32_e64 s[94:95], v28, v29                        // 000000004704: D0C9005E 00023B1C
	v_and_b32_e32 v28, 31, v0                                  // 00000000470C: 2638009F
	v_lshrrev_b32_e32 v28, 1, v28                              // 000000004710: 20383881
	v_and_b32_e32 v29, 1, v28                                  // 000000004714: 263A3881
	v_lshlrev_b32_e32 v29, 4, v29                              // 000000004718: 243A3A84
	v_and_b32_e32 v30, 2, v28                                  // 00000000471C: 263C3882
	v_lshlrev_b32_e32 v30, 2, v30                              // 000000004720: 243C3C82
	v_add_u32_e32 v29, v30, v29                                // 000000004724: 683A3B1E
	v_and_b32_e32 v30, 12, v28                                 // 000000004728: 263C388C
	v_lshrrev_b32_e32 v30, 1, v30                              // 00000000472C: 203C3C81
	v_add_u32_e32 v29, v30, v29                                // 000000004730: 683A3B1E
	v_lshrrev_b32_e32 v28, 5, v0                               // 000000004734: 20380085
	v_mul_i32_i24_e32 v30, 0x80, v28                           // 000000004738: 0C3C38FF 00000080
	v_add_u32_e32 v29, v30, v29                                // 000000004740: 683A3B1E
	v_and_b32_e32 v30, 1, v0                                   // 000000004744: 263C0081
	v_add_u32_e32 v11, v30, v29                                // 000000004748: 68163B1E
	s_mul_i32 s60, s46, 32                                     // 00000000474C: 923CA02E
	v_add_u32_e32 v11, s60, v11                                // 000000004750: 6816163C
	v_lshlrev_b32_e32 v11, 2, v11                              // 000000004754: 24161682
	v_lshrrev_b32_e32 v28, 4, v0                               // 000000004758: 20380084
	v_and_b32_e32 v29, 1, v28                                  // 00000000475C: 263A3881
	v_lshlrev_b32_e32 v29, 4, v29                              // 000000004760: 243A3A84
	v_and_b32_e32 v30, 2, v28                                  // 000000004764: 263C3882
	v_mul_i32_i24_e32 v30, 4, v30                              // 000000004768: 0C3C3C84
	v_add_u32_e32 v29, v30, v29                                // 00000000476C: 683A3B1E
	v_and_b32_e32 v28, 15, v0                                  // 000000004770: 2638008F
	v_lshrrev_b32_e32 v30, 2, v28                              // 000000004774: 203C3882
	v_lshlrev_b32_e32 v30, 5, v30                              // 000000004778: 243C3C85
	v_add_u32_e32 v29, v30, v29                                // 00000000477C: 683A3B1E
	v_and_b32_e32 v28, 3, v0                                   // 000000004780: 26380083
	v_and_b32_e32 v30, 1, v28                                  // 000000004784: 263C3881
	v_mul_i32_i24_e32 v30, 0x108, v30                          // 000000004788: 0C3C3CFF 00000108
	v_add_u32_e32 v29, v30, v29                                // 000000004790: 683A3B1E
	v_and_b32_e32 v30, 2, v28                                  // 000000004794: 263C3882
	v_lshlrev_b32_e32 v30, 1, v30                              // 000000004798: 243C3C81
	v_add_u32_e32 v10, v30, v29                                // 00000000479C: 68143B1E
	v_lshlrev_b32_e32 v10, 2, v10                              // 0000000047A0: 24141482
	s_mul_i32 s60, s46, 0x1980                                 // 0000000047A4: 923CFF2E 00001980
	v_add_u32_e32 v22, s60, v10                                // 0000000047AC: 682C143C
	v_lshrrev_b32_e32 v28, 5, v0                               // 0000000047B0: 20380085
	v_mul_i32_i24_e32 v13, 0x80, v28                           // 0000000047B4: 0C1A38FF 00000080
	v_and_b32_e32 v28, 31, v0                                  // 0000000047BC: 2638009F
	v_and_b32_e32 v29, 7, v28                                  // 0000000047C0: 263A3887
	v_and_b32_e32 v30, 1, v29                                  // 0000000047C4: 263C3A81
	v_lshlrev_b32_e32 v30, 2, v30                              // 0000000047C8: 243C3C82
	v_add_u32_e32 v13, v30, v13                                // 0000000047CC: 681A1B1E
	v_and_b32_e32 v30, 2, v29                                  // 0000000047D0: 263C3A82
	v_lshlrev_b32_e32 v30, 3, v30                              // 0000000047D4: 243C3C83
	v_add_u32_e32 v13, v30, v13                                // 0000000047D8: 681A1B1E
	v_and_b32_e32 v30, 4, v29                                  // 0000000047DC: 263C3A84
	v_lshlrev_b32_e32 v30, 1, v30                              // 0000000047E0: 243C3C81
	v_add_u32_e32 v13, v30, v13                                // 0000000047E4: 681A1B1E
	v_lshrrev_b32_e32 v29, 3, v28                              // 0000000047E8: 203A3883
	v_and_b32_e32 v30, 1, v29                                  // 0000000047EC: 263C3A81
	v_lshlrev_b32_e32 v30, 1, v30                              // 0000000047F0: 243C3C81
	v_add_u32_e32 v13, v30, v13                                // 0000000047F4: 681A1B1E
	v_and_b32_e32 v30, 2, v29                                  // 0000000047F8: 263C3A82
	v_lshrrev_b32_e32 v30, 1, v30                              // 0000000047FC: 203C3C81
	v_add_u32_e32 v13, v30, v13                                // 000000004800: 681A1B1E
	s_mul_i32 s60, s46, 32                                     // 000000004804: 923CA02E
	v_add_u32_e32 v13, s60, v13                                // 000000004808: 681A1A3C
	v_lshlrev_b32_e32 v13, 2, v13                              // 00000000480C: 241A1A82
	v_and_b32_e32 v28, 15, v0                                  // 000000004810: 2638008F
	v_and_b32_e32 v30, 1, v28                                  // 000000004814: 263C3881
	v_mul_i32_i24_e32 v12, 0x108, v30                          // 000000004818: 0C183CFF 00000108
	v_and_b32_e32 v30, 2, v28                                  // 000000004820: 263C3882
	v_lshlrev_b32_e32 v30, 1, v30                              // 000000004824: 243C3C81
	v_add_u32_e32 v12, v30, v12                                // 000000004828: 6818191E
	v_and_b32_e32 v30, 4, v28                                  // 00000000482C: 263C3884
	v_lshlrev_b32_e32 v30, 2, v30                              // 000000004830: 243C3C82
	v_add_u32_e32 v12, v30, v12                                // 000000004834: 6818191E
	v_and_b32_e32 v30, 8, v28                                  // 000000004838: 263C3888
	v_add_u32_e32 v12, v30, v12                                // 00000000483C: 6818191E
	v_lshrrev_b32_e32 v28, 4, v0                               // 000000004840: 20380084
	v_and_b32_e32 v30, 1, v28                                  // 000000004844: 263C3881
	v_lshlrev_b32_e32 v30, 5, v30                              // 000000004848: 243C3C85
	v_add_u32_e32 v12, v30, v12                                // 00000000484C: 6818191E
	v_and_b32_e32 v29, 2, v28                                  // 000000004850: 263A3882
	v_mul_i32_i24_e32 v30, 32, v29                             // 000000004854: 0C3C3AA0
	v_add_u32_e32 v12, v30, v12                                // 000000004858: 6818191E
	v_lshlrev_b32_e32 v12, 2, v12                              // 00000000485C: 24181882
	v_lshrrev_b32_e32 v28, 4, v0                               // 000000004860: 20380084
	v_mul_i32_i24_e32 v21, 4, v28                              // 000000004864: 0C2A3884
	v_and_b32_e32 v29, 3, v0                                   // 000000004868: 263A0083
	v_add_u32_e32 v21, v29, v21                                // 00000000486C: 682A2B1D
	v_lshlrev_b32_e32 v21, 2, v21                              // 000000004870: 242A2A82
	v_lshrrev_b32_e32 v28, 5, v0                               // 000000004874: 20380085
	v_mul_i32_i24_e32 v26, 0x104, v28                          // 000000004878: 0C3438FF 00000104
	v_and_b32_e32 v28, 31, v0                                  // 000000004880: 2638009F
	v_and_b32_e32 v29, 7, v28                                  // 000000004884: 263A3887
	v_lshlrev_b32_e32 v30, 2, v29                              // 000000004888: 243C3A82
	v_add_u32_e32 v26, v30, v26                                // 00000000488C: 6834351E
	v_lshrrev_b32_e32 v29, 3, v28                              // 000000004890: 203A3883
	v_and_b32_e32 v30, 1, v29                                  // 000000004894: 263C3A81
	v_mul_i32_i24_e32 v30, 0x82, v30                           // 000000004898: 0C3C3CFF 00000082
	v_add_u32_e32 v26, v30, v26                                // 0000000048A0: 6834351E
	v_and_b32_e32 v30, 2, v29                                  // 0000000048A4: 263C3A82
	v_lshrrev_b32_e32 v30, 1, v30                              // 0000000048A8: 203C3C81
	v_add_u32_e32 v26, v30, v26                                // 0000000048AC: 6834351E
	s_mul_i32 s60, s46, 32                                     // 0000000048B0: 923CA02E
	v_add_u32_e32 v26, s60, v26                                // 0000000048B4: 6834343C
	v_lshlrev_b32_e32 v26, 2, v26                              // 0000000048B8: 24343482
	v_lshrrev_b32_e32 v28, 5, v0                               // 0000000048BC: 20380085
	v_mul_i32_i24_e32 v23, 0x618, v28                          // 0000000048C0: 0C2E38FF 00000618
	v_and_b32_e32 v28, 31, v0                                  // 0000000048C8: 2638009F
	v_lshlrev_b32_e32 v28, 1, v28                              // 0000000048CC: 24383881
	v_add_u32_e32 v23, v28, v23                                // 0000000048D0: 682E2F1C
	s_mul_i32 s60, s46, 0x186                                  // 0000000048D4: 923CFF2E 00000186
	v_add_u32_e32 v23, s60, v23                                // 0000000048DC: 682E2E3C
	v_lshlrev_b32_e32 v23, 2, v23                              // 0000000048E0: 242E2E82
	v_lshrrev_b32_e32 v28, 4, v0                               // 0000000048E4: 20380084
	v_and_b32_e32 v29, 1, v28                                  // 0000000048E8: 263A3881
	v_mul_i32_i24_e32 v19, 0x100, v29                          // 0000000048EC: 0C263AFF 00000100
	v_and_b32_e32 v29, 2, v28                                  // 0000000048F4: 263A3882
	v_mul_i32_i24_e32 v29, 64, v29                             // 0000000048F8: 0C3A3AC0
	v_add_u32_e32 v19, v29, v19                                // 0000000048FC: 6826271D
	v_and_b32_e32 v28, 15, v0                                  // 000000004900: 2638008F
	v_mul_i32_i24_e32 v29, 2, v28                              // 000000004904: 0C3A3882
	v_add_u32_e32 v19, v29, v19                                // 000000004908: 6826271D
	s_mul_i32 s60, s46, 32                                     // 00000000490C: 923CA02E
	v_add_u32_e32 v19, s60, v19                                // 000000004910: 6826263C
	v_lshlrev_b32_e32 v19, 2, v19                              // 000000004914: 24262682
	v_lshlrev_b32_e32 v20, 1, v0                               // 000000004918: 24280081
	s_mul_i32 s60, s46, 0x300                                  // 00000000491C: 923CFF2E 00000300
	v_add_u32_e32 v20, s60, v20                                // 000000004924: 6828283C
	v_lshlrev_b32_e32 v20, 2, v20                              // 000000004928: 24282882
	v_lshrrev_b32_e32 v28, 5, v0                               // 00000000492C: 20380085
	v_mul_i32_i24_e32 v17, 64, v28                             // 000000004930: 0C2238C0
	v_and_b32_e32 v28, 31, v0                                  // 000000004934: 2638009F
	v_and_b32_e32 v28, 3, v28                                  // 000000004938: 26383883
	v_and_b32_e32 v29, 1, v28                                  // 00000000493C: 263A3881
	v_mul_i32_i24_e32 v29, 4, v29                              // 000000004940: 0C3A3A84
	v_add_u32_e32 v17, v29, v17                                // 000000004944: 6822231D
	v_and_b32_e32 v29, 2, v28                                  // 000000004948: 263A3882
	v_mul_i32_i24_e32 v29, 0x44, v29                           // 00000000494C: 0C3A3AFF 00000044
	v_add_u32_e32 v17, v29, v17                                // 000000004954: 6822231D
	v_and_b32_e32 v28, 31, v0                                  // 000000004958: 2638009F
	v_lshrrev_b32_e32 v28, 2, v28                              // 00000000495C: 20383882
	v_lshrrev_b32_e32 v30, 2, v28                              // 000000004960: 203C3882
	v_mul_i32_i24_e32 v29, 16, v30                             // 000000004964: 0C3A3C90
	v_add_u32_e32 v17, v29, v17                                // 000000004968: 6822231D
	v_and_b32_e32 v29, 2, v28                                  // 00000000496C: 263A3882
	v_lshlrev_b32_e32 v29, 4, v29                              // 000000004970: 243A3A84
	v_add_u32_e32 v17, v29, v17                                // 000000004974: 6822231D
	v_and_b32_e32 v29, 1, v28                                  // 000000004978: 263A3881
	v_xor_b32_e32 v29, v30, v29                                // 00000000497C: 2A3A3B1E
	v_mul_i32_i24_e32 v29, 8, v29                              // 000000004980: 0C3A3A88
	v_add_u32_e32 v17, v29, v17                                // 000000004984: 6822231D
	v_lshlrev_b32_e32 v17, 2, v17                              // 000000004988: 24222282
	v_lshrrev_b32_e32 v28, 5, v0                               // 00000000498C: 20380085
	v_mul_i32_i24_e32 v18, 32, v28                             // 000000004990: 0C2438A0
	v_and_b32_e32 v28, 31, v0                                  // 000000004994: 2638009F
	v_and_b32_e32 v28, 3, v28                                  // 000000004998: 26383883
	v_and_b32_e32 v29, 1, v28                                  // 00000000499C: 263A3881
	v_mul_i32_i24_e32 v29, 4, v29                              // 0000000049A0: 0C3A3A84
	v_add_u32_e32 v18, v29, v18                                // 0000000049A4: 6824251D
	v_and_b32_e32 v29, 2, v28                                  // 0000000049A8: 263A3882
	v_lshrrev_b32_e32 v29, 1, v29                              // 0000000049AC: 203A3A81
	v_add_u32_e32 v18, v29, v18                                // 0000000049B0: 6824251D
	v_and_b32_e32 v28, 31, v0                                  // 0000000049B4: 2638009F
	v_lshrrev_b32_e32 v28, 2, v28                              // 0000000049B8: 20383882
	v_and_b32_e32 v30, 1, v28                                  // 0000000049BC: 263C3881
	v_mul_i32_i24_e32 v29, 16, v30                             // 0000000049C0: 0C3A3C90
	v_add_u32_e32 v18, v29, v18                                // 0000000049C4: 6824251D
	v_and_b32_e32 v29, 2, v28                                  // 0000000049C8: 263A3882
	v_add_u32_e32 v18, v29, v18                                // 0000000049CC: 6824251D
	v_lshrrev_b32_e32 v29, 2, v28                              // 0000000049D0: 203A3882
	v_xor_b32_e32 v29, v30, v29                                // 0000000049D4: 2A3A3B1E
	v_mul_i32_i24_e32 v29, 8, v29                              // 0000000049D8: 0C3A3A88
	v_add_u32_e32 v18, v29, v18                                // 0000000049DC: 6824251D
	s_and_b32 s60, 1, s46                                      // 0000000049E0: 863C2E81
	s_mul_i32 s60, s60, 64                                     // 0000000049E4: 923CC03C
	s_lshr_b32 s61, s46, 1                                     // 0000000049E8: 8F3D812E
	s_mul_i32 s61, s61, 0x120                                  // 0000000049EC: 923DFF3D 00000120
	s_add_u32 s60, s60, s61                                    // 0000000049F4: 803C3D3C
	v_add_u32_e32 v18, s60, v18                                // 0000000049F8: 6824243C
	v_lshlrev_b32_e32 v18, 2, v18                              // 0000000049FC: 24242482
	buffer_load_dword v160, v1, s[12:15], 0 idxen              // 000000004A00: E0502000 8003A001
	buffer_load_dword v161, v2, s[12:15], 0 idxen              // 000000004A08: E0502000 8003A102
	buffer_load_dword v162, v1, s[12:15], 0 idxen offset:128   // 000000004A10: E0502080 8003A201
	buffer_load_dword v163, v2, s[12:15], 0 idxen offset:128   // 000000004A18: E0502080 8003A302
	v_mov_b32_e32 v164, 0                                      // 000000004A20: 7F480280
	s_mov_b64 exec, s[88:89]                                   // 000000004A24: BEFE0158
	buffer_load_dword v164, v1, s[12:15], 0 idxen offset:256   // 000000004A28: E0502100 8003A401
	s_mov_b64 exec, s[86:87]                                   // 000000004A30: BEFE0156
	v_mov_b32_e32 v165, 0                                      // 000000004A34: 7F4A0280
	s_mov_b64 exec, s[88:89]                                   // 000000004A38: BEFE0158
	buffer_load_dword v165, v2, s[12:15], 0 idxen offset:256   // 000000004A3C: E0502100 8003A502
	s_mov_b64 exec, s[86:87]                                   // 000000004A44: BEFE0156
	s_mul_i32 s60, 4, s6                                       // 000000004A48: 923C0684
	v_add_u32_e32 v1, s60, v1                                  // 000000004A4C: 6802023C
	v_add_u32_e32 v2, s60, v2                                  // 000000004A50: 6804043C
	buffer_load_dword v166, v1, s[12:15], 0 idxen              // 000000004A54: E0502000 8003A601
	buffer_load_dword v167, v2, s[12:15], 0 idxen              // 000000004A5C: E0502000 8003A702
	buffer_load_dword v168, v1, s[12:15], 0 idxen offset:128   // 000000004A64: E0502080 8003A801
	buffer_load_dword v169, v2, s[12:15], 0 idxen offset:128   // 000000004A6C: E0502080 8003A902
	v_mov_b32_e32 v170, 0                                      // 000000004A74: 7F540280
	s_mov_b64 exec, s[88:89]                                   // 000000004A78: BEFE0158
	buffer_load_dword v170, v1, s[12:15], 0 idxen offset:256   // 000000004A7C: E0502100 8003AA01
	s_mov_b64 exec, s[86:87]                                   // 000000004A84: BEFE0156
	v_mov_b32_e32 v171, 0                                      // 000000004A88: 7F560280
	s_mov_b64 exec, s[88:89]                                   // 000000004A8C: BEFE0158
	buffer_load_dword v171, v2, s[12:15], 0 idxen offset:256   // 000000004A90: E0502100 8003AB02
	s_mov_b64 exec, s[86:87]                                   // 000000004A98: BEFE0156
	s_mul_i32 s60, 4, s6                                       // 000000004A9C: 923C0684
	v_add_u32_e32 v1, s60, v1                                  // 000000004AA0: 6802023C
	v_add_u32_e32 v2, s60, v2                                  // 000000004AA4: 6804043C
	buffer_load_dword v172, v1, s[12:15], 0 idxen              // 000000004AA8: E0502000 8003AC01
	buffer_load_dword v173, v2, s[12:15], 0 idxen              // 000000004AB0: E0502000 8003AD02
	buffer_load_dword v174, v1, s[12:15], 0 idxen offset:128   // 000000004AB8: E0502080 8003AE01
	buffer_load_dword v175, v2, s[12:15], 0 idxen offset:128   // 000000004AC0: E0502080 8003AF02
	v_mov_b32_e32 v176, 0                                      // 000000004AC8: 7F600280
	s_mov_b64 exec, s[88:89]                                   // 000000004ACC: BEFE0158
	buffer_load_dword v176, v1, s[12:15], 0 idxen offset:256   // 000000004AD0: E0502100 8003B001
	s_mov_b64 exec, s[86:87]                                   // 000000004AD8: BEFE0156
	v_mov_b32_e32 v177, 0                                      // 000000004ADC: 7F620280
	s_mov_b64 exec, s[88:89]                                   // 000000004AE0: BEFE0158
	buffer_load_dword v177, v2, s[12:15], 0 idxen offset:256   // 000000004AE4: E0502100 8003B102
	s_mov_b64 exec, s[86:87]                                   // 000000004AEC: BEFE0156
	s_mul_i32 s60, 4, s6                                       // 000000004AF0: 923C0684
	v_add_u32_e32 v1, s60, v1                                  // 000000004AF4: 6802023C
	v_add_u32_e32 v2, s60, v2                                  // 000000004AF8: 6804043C
	buffer_load_dword v178, v1, s[12:15], 0 idxen              // 000000004AFC: E0502000 8003B201
	buffer_load_dword v179, v2, s[12:15], 0 idxen              // 000000004B04: E0502000 8003B302
	buffer_load_dword v180, v1, s[12:15], 0 idxen offset:128   // 000000004B0C: E0502080 8003B401
	buffer_load_dword v181, v2, s[12:15], 0 idxen offset:128   // 000000004B14: E0502080 8003B502
	v_mov_b32_e32 v182, 0                                      // 000000004B1C: 7F6C0280
	s_mov_b64 exec, s[88:89]                                   // 000000004B20: BEFE0158
	buffer_load_dword v182, v1, s[12:15], 0 idxen offset:256   // 000000004B24: E0502100 8003B601
	s_mov_b64 exec, s[86:87]                                   // 000000004B2C: BEFE0156
	v_mov_b32_e32 v183, 0                                      // 000000004B30: 7F6E0280
	s_mov_b64 exec, s[88:89]                                   // 000000004B34: BEFE0158
	buffer_load_dword v183, v2, s[12:15], 0 idxen offset:256   // 000000004B38: E0502100 8003B702
	s_mov_b64 exec, s[86:87]                                   // 000000004B40: BEFE0156
	s_mul_i32 s60, 4, s6                                       // 000000004B44: 923C0684
	v_add_u32_e32 v1, s60, v1                                  // 000000004B48: 6802023C
	v_add_u32_e32 v2, s60, v2                                  // 000000004B4C: 6804043C
	s_waitcnt vmcnt(0) lgkmcnt(0)                              // 000000004B50: BF8C0070
	s_barrier                                                  // 000000004B54: BF8A0000
	v_perm_b32 v184, v161, v160, s63                           // 000000004B58: D1ED00B8 00FF41A1
	v_perm_b32 v185, v161, v160, s64                           // 000000004B60: D1ED00B9 010341A1
	v_perm_b32 v186, v163, v162, s63                           // 000000004B68: D1ED00BA 00FF45A3
	v_perm_b32 v187, v163, v162, s64                           // 000000004B70: D1ED00BB 010345A3
	v_perm_b32 v188, v165, v164, s63                           // 000000004B78: D1ED00BC 00FF49A5
	v_perm_b32 v189, v165, v164, s64                           // 000000004B80: D1ED00BD 010349A5
	v_perm_b32 v190, v167, v166, s63                           // 000000004B88: D1ED00BE 00FF4DA7
	v_perm_b32 v191, v167, v166, s64                           // 000000004B90: D1ED00BF 01034DA7
	v_perm_b32 v192, v169, v168, s63                           // 000000004B98: D1ED00C0 00FF51A9
	v_perm_b32 v193, v169, v168, s64                           // 000000004BA0: D1ED00C1 010351A9
	v_perm_b32 v194, v171, v170, s63                           // 000000004BA8: D1ED00C2 00FF55AB
	v_perm_b32 v195, v171, v170, s64                           // 000000004BB0: D1ED00C3 010355AB
	v_perm_b32 v196, v173, v172, s63                           // 000000004BB8: D1ED00C4 00FF59AD
	v_perm_b32 v197, v173, v172, s64                           // 000000004BC0: D1ED00C5 010359AD
	v_perm_b32 v198, v175, v174, s63                           // 000000004BC8: D1ED00C6 00FF5DAF
	v_perm_b32 v199, v175, v174, s64                           // 000000004BD0: D1ED00C7 01035DAF
	v_perm_b32 v200, v177, v176, s63                           // 000000004BD8: D1ED00C8 00FF61B1
	v_perm_b32 v201, v177, v176, s64                           // 000000004BE0: D1ED00C9 010361B1
	v_perm_b32 v202, v179, v178, s63                           // 000000004BE8: D1ED00CA 00FF65B3
	v_perm_b32 v203, v179, v178, s64                           // 000000004BF0: D1ED00CB 010365B3
	v_perm_b32 v204, v181, v180, s63                           // 000000004BF8: D1ED00CC 00FF69B5
	v_perm_b32 v205, v181, v180, s64                           // 000000004C00: D1ED00CD 010369B5
	v_perm_b32 v206, v183, v182, s63                           // 000000004C08: D1ED00CE 00FF6DB7
	v_perm_b32 v207, v183, v182, s64                           // 000000004C10: D1ED00CF 01036DB7
	ds_write_b32 v26, v184 offset:26112                        // 000000004C18: D81A6600 0000B81A
	ds_write_b32 v26, v185 offset:26120                        // 000000004C20: D81A6608 0000B91A
	ds_write_b32 v26, v186 offset:28192                        // 000000004C28: D81A6E20 0000BA1A
	ds_write_b32 v26, v187 offset:28200                        // 000000004C30: D81A6E28 0000BB1A
	ds_write_b32 v26, v188 offset:30272                        // 000000004C38: D81A7640 0000BC1A
	ds_write_b32 v26, v189 offset:30280                        // 000000004C40: D81A7648 0000BD1A
	ds_write_b32 v26, v190 offset:32352                        // 000000004C48: D81A7E60 0000BE1A
	ds_write_b32 v26, v191 offset:32360                        // 000000004C50: D81A7E68 0000BF1A
	ds_write_b32 v26, v192 offset:34432                        // 000000004C58: D81A8680 0000C01A
	ds_write_b32 v26, v193 offset:34440                        // 000000004C60: D81A8688 0000C11A
	ds_write_b32 v26, v194 offset:36512                        // 000000004C68: D81A8EA0 0000C21A
	ds_write_b32 v26, v195 offset:36520                        // 000000004C70: D81A8EA8 0000C31A
	ds_write_b32 v26, v196 offset:38592                        // 000000004C78: D81A96C0 0000C41A
	ds_write_b32 v26, v197 offset:38600                        // 000000004C80: D81A96C8 0000C51A
	ds_write_b32 v26, v198 offset:40672                        // 000000004C88: D81A9EE0 0000C61A
	ds_write_b32 v26, v199 offset:40680                        // 000000004C90: D81A9EE8 0000C71A
	ds_write_b32 v26, v200 offset:42752                        // 000000004C98: D81AA700 0000C81A
	ds_write_b32 v26, v201 offset:42760                        // 000000004CA0: D81AA708 0000C91A
	ds_write_b32 v26, v202 offset:44832                        // 000000004CA8: D81AAF20 0000CA1A
	ds_write_b32 v26, v203 offset:44840                        // 000000004CB0: D81AAF28 0000CB1A
	ds_write_b32 v26, v204 offset:46912                        // 000000004CB8: D81AB740 0000CC1A
	ds_write_b32 v26, v205 offset:46920                        // 000000004CC0: D81AB748 0000CD1A
	ds_write_b32 v26, v206 offset:48992                        // 000000004CC8: D81ABF60 0000CE1A
	ds_write_b32 v26, v207 offset:49000                        // 000000004CD0: D81ABF68 0000CF1A
	ds_write_b32 v11, v160                                     // 000000004CD8: D81A0000 0000A00B
	ds_write_b32 v11, v161 offset:1056                         // 000000004CE0: D81A0420 0000A10B
	ds_write_b32 v11, v162 offset:2176                         // 000000004CE8: D81A0880 0000A20B
	ds_write_b32 v11, v163 offset:3232                         // 000000004CF0: D81A0CA0 0000A30B
	ds_write_b32 v11, v164 offset:4352                         // 000000004CF8: D81A1100 0000A40B
	ds_write_b32 v11, v165 offset:5408                         // 000000004D00: D81A1520 0000A50B
	ds_write_b32 v11, v166 offset:6528                         // 000000004D08: D81A1980 0000A60B
	ds_write_b32 v11, v167 offset:7584                         // 000000004D10: D81A1DA0 0000A70B
	ds_write_b32 v11, v168 offset:8704                         // 000000004D18: D81A2200 0000A80B
	ds_write_b32 v11, v169 offset:9760                         // 000000004D20: D81A2620 0000A90B
	ds_write_b32 v11, v170 offset:10880                        // 000000004D28: D81A2A80 0000AA0B
	ds_write_b32 v11, v171 offset:11936                        // 000000004D30: D81A2EA0 0000AB0B
	ds_write_b32 v11, v172 offset:13056                        // 000000004D38: D81A3300 0000AC0B
	ds_write_b32 v11, v173 offset:14112                        // 000000004D40: D81A3720 0000AD0B
	ds_write_b32 v11, v174 offset:15232                        // 000000004D48: D81A3B80 0000AE0B
	ds_write_b32 v11, v175 offset:16288                        // 000000004D50: D81A3FA0 0000AF0B
	ds_write_b32 v11, v176 offset:17408                        // 000000004D58: D81A4400 0000B00B
	ds_write_b32 v11, v177 offset:18464                        // 000000004D60: D81A4820 0000B10B
	ds_write_b32 v11, v178 offset:19584                        // 000000004D68: D81A4C80 0000B20B
	ds_write_b32 v11, v179 offset:20640                        // 000000004D70: D81A50A0 0000B30B
	ds_write_b32 v11, v180 offset:21760                        // 000000004D78: D81A5500 0000B40B
	ds_write_b32 v11, v181 offset:22816                        // 000000004D80: D81A5920 0000B50B
	ds_write_b32 v11, v182 offset:23936                        // 000000004D88: D81A5D80 0000B60B
	ds_write_b32 v11, v183 offset:24992                        // 000000004D90: D81A61A0 0000B70B
	s_waitcnt lgkmcnt(0)                                       // 000000004D98: BF8CC07F
	s_barrier                                                  // 000000004D9C: BF8A0000
	buffer_load_dword v160, v212, s[16:19], 0 idxen            // 000000004DA0: E0502000 8004A0D4
	buffer_load_dword v161, v213, s[16:19], 0 idxen            // 000000004DA8: E0502000 8004A1D5
	buffer_load_dword v162, v212, s[16:19], 0 idxen offset:128 // 000000004DB0: E0502080 8004A2D4
	buffer_load_dword v163, v213, s[16:19], 0 idxen offset:128 // 000000004DB8: E0502080 8004A3D5
	v_mov_b32_e32 v164, 0                                      // 000000004DC0: 7F480280
	s_mov_b64 exec, s[88:89]                                   // 000000004DC4: BEFE0158
	buffer_load_dword v164, v212, s[16:19], 0 idxen offset:256 // 000000004DC8: E0502100 8004A4D4
	s_mov_b64 exec, s[86:87]                                   // 000000004DD0: BEFE0156
	v_mov_b32_e32 v165, 0                                      // 000000004DD4: 7F4A0280
	s_mov_b64 exec, s[88:89]                                   // 000000004DD8: BEFE0158
	buffer_load_dword v165, v213, s[16:19], 0 idxen offset:256 // 000000004DDC: E0502100 8004A5D5
	s_mov_b64 exec, s[86:87]                                   // 000000004DE4: BEFE0156
	s_mul_i32 s60, 4, s7                                       // 000000004DE8: 923C0784
	v_add_u32_e32 v212, s60, v212                              // 000000004DEC: 69A9A83C
	v_add_u32_e32 v213, s60, v213                              // 000000004DF0: 69ABAA3C
	buffer_load_dword v166, v212, s[16:19], 0 idxen            // 000000004DF4: E0502000 8004A6D4
	buffer_load_dword v167, v213, s[16:19], 0 idxen            // 000000004DFC: E0502000 8004A7D5
	buffer_load_dword v168, v212, s[16:19], 0 idxen offset:128 // 000000004E04: E0502080 8004A8D4
	buffer_load_dword v169, v213, s[16:19], 0 idxen offset:128 // 000000004E0C: E0502080 8004A9D5
	v_mov_b32_e32 v170, 0                                      // 000000004E14: 7F540280
	s_mov_b64 exec, s[88:89]                                   // 000000004E18: BEFE0158
	buffer_load_dword v170, v212, s[16:19], 0 idxen offset:256 // 000000004E1C: E0502100 8004AAD4
	s_mov_b64 exec, s[86:87]                                   // 000000004E24: BEFE0156
	v_mov_b32_e32 v171, 0                                      // 000000004E28: 7F560280
	s_mov_b64 exec, s[88:89]                                   // 000000004E2C: BEFE0158
	buffer_load_dword v171, v213, s[16:19], 0 idxen offset:256 // 000000004E30: E0502100 8004ABD5
	s_mov_b64 exec, s[86:87]                                   // 000000004E38: BEFE0156
	s_mul_i32 s60, 4, s7                                       // 000000004E3C: 923C0784
	v_add_u32_e32 v212, s60, v212                              // 000000004E40: 69A9A83C
	v_add_u32_e32 v213, s60, v213                              // 000000004E44: 69ABAA3C
	buffer_load_dword v172, v212, s[16:19], 0 idxen            // 000000004E48: E0502000 8004ACD4
	buffer_load_dword v173, v213, s[16:19], 0 idxen            // 000000004E50: E0502000 8004ADD5
	buffer_load_dword v174, v212, s[16:19], 0 idxen offset:128 // 000000004E58: E0502080 8004AED4
	buffer_load_dword v175, v213, s[16:19], 0 idxen offset:128 // 000000004E60: E0502080 8004AFD5
	v_mov_b32_e32 v176, 0                                      // 000000004E68: 7F600280
	s_mov_b64 exec, s[88:89]                                   // 000000004E6C: BEFE0158
	buffer_load_dword v176, v212, s[16:19], 0 idxen offset:256 // 000000004E70: E0502100 8004B0D4
	s_mov_b64 exec, s[86:87]                                   // 000000004E78: BEFE0156
	v_mov_b32_e32 v177, 0                                      // 000000004E7C: 7F620280
	s_mov_b64 exec, s[88:89]                                   // 000000004E80: BEFE0158
	buffer_load_dword v177, v213, s[16:19], 0 idxen offset:256 // 000000004E84: E0502100 8004B1D5
	s_mov_b64 exec, s[86:87]                                   // 000000004E8C: BEFE0156
	s_mul_i32 s60, 4, s7                                       // 000000004E90: 923C0784
	v_add_u32_e32 v212, s60, v212                              // 000000004E94: 69A9A83C
	v_add_u32_e32 v213, s60, v213                              // 000000004E98: 69ABAA3C
	buffer_load_dword v178, v212, s[16:19], 0 idxen            // 000000004E9C: E0502000 8004B2D4
	buffer_load_dword v179, v213, s[16:19], 0 idxen            // 000000004EA4: E0502000 8004B3D5
	buffer_load_dword v180, v212, s[16:19], 0 idxen offset:128 // 000000004EAC: E0502080 8004B4D4
	buffer_load_dword v181, v213, s[16:19], 0 idxen offset:128 // 000000004EB4: E0502080 8004B5D5
	v_mov_b32_e32 v182, 0                                      // 000000004EBC: 7F6C0280
	s_mov_b64 exec, s[88:89]                                   // 000000004EC0: BEFE0158
	buffer_load_dword v182, v212, s[16:19], 0 idxen offset:256 // 000000004EC4: E0502100 8004B6D4
	s_mov_b64 exec, s[86:87]                                   // 000000004ECC: BEFE0156
	v_mov_b32_e32 v183, 0                                      // 000000004ED0: 7F6E0280
	s_mov_b64 exec, s[88:89]                                   // 000000004ED4: BEFE0158
	buffer_load_dword v183, v213, s[16:19], 0 idxen offset:256 // 000000004ED8: E0502100 8004B7D5
	s_mov_b64 exec, s[86:87]                                   // 000000004EE0: BEFE0156
	s_mul_i32 s60, 4, s7                                       // 000000004EE4: 923C0784
	v_add_u32_e32 v212, s60, v212                              // 000000004EE8: 69A9A83C
	v_add_u32_e32 v213, s60, v213                              // 000000004EEC: 69ABAA3C
	ds_read_b64 a[24:25], v23 offset:26112                     // 000000004EF0: DAEC6600 18000017
	ds_read_b64 a[26:27], v23 offset:26632                     // 000000004EF8: DAEC6808 1A000017
	ds_read_b64 a[28:29], v23 offset:27152                     // 000000004F00: DAEC6A10 1C000017
	ds_read_b64 a[30:31], v23 offset:26368                     // 000000004F08: DAEC6700 1E000017
	ds_read_b64 a[32:33], v23 offset:26888                     // 000000004F10: DAEC6908 20000017
	ds_read_b64 a[34:35], v23 offset:27408                     // 000000004F18: DAEC6B10 22000017
	ds_read_b64 a[36:37], v23 offset:38592                     // 000000004F20: DAEC96C0 24000017
	ds_read_b64 a[38:39], v23 offset:39112                     // 000000004F28: DAEC98C8 26000017
	ds_read_b64 a[40:41], v23 offset:39632                     // 000000004F30: DAEC9AD0 28000017
	ds_read_b64 a[42:43], v23 offset:38848                     // 000000004F38: DAEC97C0 2A000017
	ds_read_b64 a[44:45], v23 offset:39368                     // 000000004F40: DAEC99C8 2C000017
	ds_read_b64 a[46:47], v23 offset:39888                     // 000000004F48: DAEC9BD0 2E000017
	ds_read_b128 a[0:3], v22                                   // 000000004F50: DBFE0000 00000016
	ds_read_b128 a[4:7], v22 offset:512                        // 000000004F58: DBFE0200 04000016
	ds_read_b128 a[8:11], v22 offset:2176                      // 000000004F60: DBFE0880 08000016
	ds_read_b128 a[12:15], v22 offset:2688                     // 000000004F68: DBFE0A80 0C000016
	ds_read_b128 a[16:19], v22 offset:4352                     // 000000004F70: DBFE1100 10000016
	ds_read_b128 a[20:23], v22 offset:4864                     // 000000004F78: DBFE1300 14000016
	s_waitcnt vmcnt(0) lgkmcnt(0)                              // 000000004F80: BF8C0070
	s_barrier                                                  // 000000004F84: BF8A0000
	ds_write_b32 v11, v160                                     // 000000004F88: D81A0000 0000A00B
	ds_write_b32 v11, v161 offset:1056                         // 000000004F90: D81A0420 0000A10B
	ds_write_b32 v11, v162 offset:2176                         // 000000004F98: D81A0880 0000A20B
	ds_write_b32 v11, v163 offset:3232                         // 000000004FA0: D81A0CA0 0000A30B
	ds_write_b32 v11, v164 offset:4352                         // 000000004FA8: D81A1100 0000A40B
	ds_write_b32 v11, v165 offset:5408                         // 000000004FB0: D81A1520 0000A50B
	ds_write_b32 v11, v166 offset:6528                         // 000000004FB8: D81A1980 0000A60B
	ds_write_b32 v11, v167 offset:7584                         // 000000004FC0: D81A1DA0 0000A70B
	ds_write_b32 v11, v168 offset:8704                         // 000000004FC8: D81A2200 0000A80B
	ds_write_b32 v11, v169 offset:9760                         // 000000004FD0: D81A2620 0000A90B
	ds_write_b32 v11, v170 offset:10880                        // 000000004FD8: D81A2A80 0000AA0B
	ds_write_b32 v11, v171 offset:11936                        // 000000004FE0: D81A2EA0 0000AB0B
	ds_write_b32 v11, v172 offset:13056                        // 000000004FE8: D81A3300 0000AC0B
	ds_write_b32 v11, v173 offset:14112                        // 000000004FF0: D81A3720 0000AD0B
	ds_write_b32 v11, v174 offset:15232                        // 000000004FF8: D81A3B80 0000AE0B
	ds_write_b32 v11, v175 offset:16288                        // 000000005000: D81A3FA0 0000AF0B
	ds_write_b32 v11, v176 offset:17408                        // 000000005008: D81A4400 0000B00B
	ds_write_b32 v11, v177 offset:18464                        // 000000005010: D81A4820 0000B10B
	ds_write_b32 v11, v178 offset:19584                        // 000000005018: D81A4C80 0000B20B
	ds_write_b32 v11, v179 offset:20640                        // 000000005020: D81A50A0 0000B30B
	ds_write_b32 v11, v180 offset:21760                        // 000000005028: D81A5500 0000B40B
	ds_write_b32 v11, v181 offset:22816                        // 000000005030: D81A5920 0000B50B
	ds_write_b32 v11, v182 offset:23936                        // 000000005038: D81A5D80 0000B60B
	ds_write_b32 v11, v183 offset:24992                        // 000000005040: D81A61A0 0000B70B
	s_mov_b32 s71, s5                                          // 000000005048: BEC70005
	v_lshrrev_b32_e32 v28, 4, v0                               // 00000000504C: 20380084
	v_and_b32_e32 v29, 1, v28                                  // 000000005050: 263A3881
	v_lshlrev_b32_e32 v29, 1, v29                              // 000000005054: 243A3A81
	v_mul_i32_i24_e32 v29, s71, v29                            // 000000005058: 0C3A3A47
	v_and_b32_e32 v30, 2, v28                                  // 00000000505C: 263C3882
	v_lshlrev_b32_e32 v30, 5, v30                              // 000000005060: 243C3C85
	v_add_u32_e32 v29, v30, v29                                // 000000005064: 683A3B1E
	v_and_b32_e32 v28, 15, v0                                  // 000000005068: 2638008F
	v_lshlrev_b32_e32 v28, 2, v28                              // 00000000506C: 24383882
	v_add_u32_e32 v1, v28, v29                                 // 000000005070: 68023B1C
	s_mul_i32 s60, s46, s71                                    // 000000005074: 923C472E
	s_mul_i32 s60, s60, 4                                      // 000000005078: 923C843C
	v_add_u32_e32 v1, s60, v1                                  // 00000000507C: 6802023C
	v_add_u32_e32 v2, s71, v1                                  // 000000005080: 68040247
	s_mov_b32 s71, s51                                         // 000000005084: BEC70033
	v_lshrrev_b32_e32 v28, 4, v0                               // 000000005088: 20380084
	v_and_b32_e32 v29, 1, v28                                  // 00000000508C: 263A3881
	v_lshlrev_b32_e32 v29, 1, v29                              // 000000005090: 243A3A81
	v_mul_i32_i24_e32 v29, s71, v29                            // 000000005094: 0C3A3A47
	v_and_b32_e32 v30, 2, v28                                  // 000000005098: 263C3882
	v_lshlrev_b32_e32 v30, 5, v30                              // 00000000509C: 243C3C85
	v_add_u32_e32 v29, v30, v29                                // 0000000050A0: 683A3B1E
	v_and_b32_e32 v28, 15, v0                                  // 0000000050A4: 2638008F
	v_lshlrev_b32_e32 v28, 2, v28                              // 0000000050A8: 24383882
	v_add_u32_e32 v212, v28, v29                               // 0000000050AC: 69A83B1C
	s_mul_i32 s60, s46, s71                                    // 0000000050B0: 923C472E
	s_mul_i32 s60, s60, 4                                      // 0000000050B4: 923C843C
	v_add_u32_e32 v212, s60, v212                              // 0000000050B8: 69A9A83C
	v_add_u32_e32 v213, s71, v212                              // 0000000050BC: 69ABA847
	v_lshrrev_b32_e32 v1, 2, v1                                // 0000000050C0: 20020282
	v_lshrrev_b32_e32 v2, 2, v2                                // 0000000050C4: 20040482
	v_lshrrev_b32_e32 v212, 2, v212                            // 0000000050C8: 21A9A882
	v_lshrrev_b32_e32 v213, 2, v213                            // 0000000050CC: 21ABAA82
	buffer_load_dword v32, v1, s[8:11], 0 idxen                // 0000000050D0: E0502000 80022001
	buffer_load_dword v33, v2, s[8:11], 0 idxen                // 0000000050D8: E0502000 80022102
	buffer_load_dword v34, v1, s[8:11], 0 idxen offset:128     // 0000000050E0: E0502080 80022201
	buffer_load_dword v35, v2, s[8:11], 0 idxen offset:128     // 0000000050E8: E0502080 80022302
	v_mov_b32_e32 v36, 0                                       // 0000000050F0: 7E480280
	s_mov_b64 exec, s[88:89]                                   // 0000000050F4: BEFE0158
	buffer_load_dword v36, v1, s[8:11], 0 idxen offset:256     // 0000000050F8: E0502100 80022401
	s_mov_b64 exec, s[86:87]                                   // 000000005100: BEFE0156
	v_mov_b32_e32 v37, 0                                       // 000000005104: 7E4A0280
	s_mov_b64 exec, s[88:89]                                   // 000000005108: BEFE0158
	buffer_load_dword v37, v2, s[8:11], 0 idxen offset:256     // 00000000510C: E0502100 80022502
	s_mov_b64 exec, s[86:87]                                   // 000000005114: BEFE0156
	buffer_load_dword v44, v212, s[20:23], 0 idxen             // 000000005118: E0502000 80052CD4
	buffer_load_dword v45, v213, s[20:23], 0 idxen             // 000000005120: E0502000 80052DD5
	buffer_load_dword v46, v212, s[20:23], 0 idxen offset:128  // 000000005128: E0502080 80052ED4
	buffer_load_dword v47, v213, s[20:23], 0 idxen offset:128  // 000000005130: E0502080 80052FD5
	v_mov_b32_e32 v48, 0                                       // 000000005138: 7E600280
	s_mov_b64 exec, s[88:89]                                   // 00000000513C: BEFE0158
	buffer_load_dword v48, v212, s[20:23], 0 idxen offset:256  // 000000005140: E0502100 800530D4
	s_mov_b64 exec, s[86:87]                                   // 000000005148: BEFE0156
	v_mov_b32_e32 v49, 0                                       // 00000000514C: 7E620280
	s_mov_b64 exec, s[88:89]                                   // 000000005150: BEFE0158
	buffer_load_dword v49, v213, s[20:23], 0 idxen offset:256  // 000000005154: E0502100 800531D5
	s_mov_b64 exec, s[86:87]                                   // 00000000515C: BEFE0156
	s_waitcnt lgkmcnt(0)                                       // 000000005160: BF8CC07F
	s_barrier                                                  // 000000005164: BF8A0000
	ds_read_b128 a[48:51], v22                                 // 000000005168: DBFE0000 30000016
	ds_read_b128 a[52:55], v22 offset:512                      // 000000005170: DBFE0200 34000016
	ds_read_b128 a[56:59], v22 offset:2176                     // 000000005178: DBFE0880 38000016
	ds_read_b128 a[60:63], v22 offset:2688                     // 000000005180: DBFE0A80 3C000016
	ds_read_b128 a[64:67], v22 offset:4352                     // 000000005188: DBFE1100 40000016
	ds_read_b128 a[68:71], v22 offset:4864                     // 000000005190: DBFE1300 44000016
	v_add_u32_e32 v1, s68, v1                                  // 000000005198: 68020244
	v_add_u32_e32 v2, s68, v2                                  // 00000000519C: 68040444
	v_add_u32_e32 v212, s97, v212                              // 0000000051A0: 69A9A861
	v_add_u32_e32 v213, s97, v213                              // 0000000051A4: 69ABAA61
	buffer_load_dword v38, v1, s[8:11], 0 idxen                // 0000000051A8: E0502000 80022601
	buffer_load_dword v39, v2, s[8:11], 0 idxen                // 0000000051B0: E0502000 80022702
	buffer_load_dword v40, v1, s[8:11], 0 idxen offset:128     // 0000000051B8: E0502080 80022801
	buffer_load_dword v41, v2, s[8:11], 0 idxen offset:128     // 0000000051C0: E0502080 80022902
	v_mov_b32_e32 v42, 0                                       // 0000000051C8: 7E540280
	s_mov_b64 exec, s[88:89]                                   // 0000000051CC: BEFE0158
	buffer_load_dword v42, v1, s[8:11], 0 idxen offset:256     // 0000000051D0: E0502100 80022A01
	s_mov_b64 exec, s[86:87]                                   // 0000000051D8: BEFE0156
	v_mov_b32_e32 v43, 0                                       // 0000000051DC: 7E560280
	s_mov_b64 exec, s[88:89]                                   // 0000000051E0: BEFE0158
	buffer_load_dword v43, v2, s[8:11], 0 idxen offset:256     // 0000000051E4: E0502100 80022B02
	s_mov_b64 exec, s[86:87]                                   // 0000000051EC: BEFE0156
	buffer_load_dword v50, v212, s[20:23], 0 idxen             // 0000000051F0: E0502000 800532D4
	buffer_load_dword v51, v213, s[20:23], 0 idxen             // 0000000051F8: E0502000 800533D5
	buffer_load_dword v52, v212, s[20:23], 0 idxen offset:128  // 000000005200: E0502080 800534D4
	buffer_load_dword v53, v213, s[20:23], 0 idxen offset:128  // 000000005208: E0502080 800535D5
	v_mov_b32_e32 v54, 0                                       // 000000005210: 7E6C0280
	s_mov_b64 exec, s[88:89]                                   // 000000005214: BEFE0158
	buffer_load_dword v54, v212, s[20:23], 0 idxen offset:256  // 000000005218: E0502100 800536D4
	s_mov_b64 exec, s[86:87]                                   // 000000005220: BEFE0156
	v_mov_b32_e32 v55, 0                                       // 000000005224: 7E6E0280
	s_mov_b64 exec, s[88:89]                                   // 000000005228: BEFE0158
	buffer_load_dword v55, v213, s[20:23], 0 idxen offset:256  // 00000000522C: E0502100 800537D5
	s_mov_b64 exec, s[86:87]                                   // 000000005234: BEFE0156
	v_add_u32_e32 v1, s68, v1                                  // 000000005238: 68020244
	v_add_u32_e32 v2, s68, v2                                  // 00000000523C: 68040444
	v_add_u32_e32 v212, s97, v212                              // 000000005240: 69A9A861
	v_add_u32_e32 v213, s97, v213                              // 000000005244: 69ABAA61
	s_waitcnt vmcnt(12) lgkmcnt(0)                             // 000000005248: BF8C007C
	s_barrier                                                  // 00000000524C: BF8A0000
	buffer_load_dword v9, s[24:27], 0 idxen lds                // 000000005250: E0512000 80060009
	s_mov_b32 m0, s77                                          // 000000005258: BEFC004D
	v_add_u32_e32 v9, s69, v9                                  // 00000000525C: 68121245
	v_perm_b32 v68, v33, v32, s63                              // 000000005260: D1ED0044 00FE4121
	v_perm_b32 v69, v33, v32, s64                              // 000000005268: D1ED0045 01024121
	v_perm_b32 v70, v35, v34, s63                              // 000000005270: D1ED0046 00FE4523
	v_perm_b32 v71, v35, v34, s64                              // 000000005278: D1ED0047 01024523
	v_perm_b32 v72, v37, v36, s63                              // 000000005280: D1ED0048 00FE4925
	v_perm_b32 v73, v37, v36, s64                              // 000000005288: D1ED0049 01024925
	ds_write_b32 v13, v68 offset:6528                          // 000000005290: D81A1980 0000440D
	ds_write_b32 v13, v69 offset:7584                          // 000000005298: D81A1DA0 0000450D
	ds_write_b32 v13, v70 offset:8704                          // 0000000052A0: D81A2200 0000460D
	ds_write_b32 v13, v71 offset:9760                          // 0000000052A8: D81A2620 0000470D
	ds_write_b32 v13, v72 offset:10880                         // 0000000052B0: D81A2A80 0000480D
	ds_write_b32 v13, v73 offset:11936                         // 0000000052B8: D81A2EA0 0000490D
	ds_write_b32 v11, v32                                      // 0000000052C0: D81A0000 0000200B
	ds_write_b32 v11, v33 offset:1056                          // 0000000052C8: D81A0420 0000210B
	ds_write_b32 v11, v34 offset:2176                          // 0000000052D0: D81A0880 0000220B
	ds_write_b32 v11, v35 offset:3232                          // 0000000052D8: D81A0CA0 0000230B
	ds_write_b32 v11, v36 offset:4352                          // 0000000052E0: D81A1100 0000240B
	ds_write_b32 v11, v37 offset:5408                          // 0000000052E8: D81A1520 0000250B
	buffer_load_dword v9, s[24:27], 0 idxen lds                // 0000000052F0: E0512000 80060009
	s_mov_b32 m0, s76                                          // 0000000052F8: BEFC004C
	v_add_u32_e32 v9, s69, v9                                  // 0000000052FC: 68121245
	v_perm_b32 v74, v45, v44, s63                              // 000000005300: D1ED004A 00FE592D
	v_perm_b32 v75, v45, v44, s64                              // 000000005308: D1ED004B 0102592D
	v_perm_b32 v76, v47, v46, s63                              // 000000005310: D1ED004C 00FE5D2F
	v_perm_b32 v77, v47, v46, s64                              // 000000005318: D1ED004D 01025D2F
	v_perm_b32 v78, v49, v48, s63                              // 000000005320: D1ED004E 00FE6131
	v_perm_b32 v79, v49, v48, s64                              // 000000005328: D1ED004F 01026131
	ds_write_b32 v13, v74 offset:19584                         // 000000005330: D81A4C80 00004A0D
	ds_write_b32 v13, v75 offset:20640                         // 000000005338: D81A50A0 00004B0D
	ds_write_b32 v13, v76 offset:21760                         // 000000005340: D81A5500 00004C0D
	ds_write_b32 v13, v77 offset:22816                         // 000000005348: D81A5920 00004D0D
	ds_write_b32 v13, v78 offset:23936                         // 000000005350: D81A5D80 00004E0D
	ds_write_b32 v13, v79 offset:24992                         // 000000005358: D81A61A0 00004F0D
	ds_write_b32 v11, v44 offset:13056                         // 000000005360: D81A3300 00002C0B
	ds_write_b32 v11, v45 offset:14112                         // 000000005368: D81A3720 00002D0B
	ds_write_b32 v11, v46 offset:15232                         // 000000005370: D81A3B80 00002E0B
	ds_write_b32 v11, v47 offset:16288                         // 000000005378: D81A3FA0 00002F0B
	ds_write_b32 v11, v48 offset:17408                         // 000000005380: D81A4400 0000300B
	ds_write_b32 v11, v49 offset:18464                         // 000000005388: D81A4820 0000310B
	s_waitcnt vmcnt(1) lgkmcnt(0)                              // 000000005390: BF8C0071
	s_barrier                                                  // 000000005394: BF8A0000
	ds_read_b128 a[72:75], v10                                 // 000000005398: DBFE0000 4800000A
	ds_read_b128 a[76:79], v10 offset:512                      // 0000000053A0: DBFE0200 4C00000A
	ds_read_b128 a[80:83], v10 offset:2176                     // 0000000053A8: DBFE0880 5000000A
	ds_read_b128 a[84:87], v10 offset:2688                     // 0000000053B0: DBFE0A80 5400000A
	ds_read_b128 a[88:91], v10 offset:4352                     // 0000000053B8: DBFE1100 5800000A
	ds_read_b128 a[92:95], v10 offset:4864                     // 0000000053C0: DBFE1300 5C00000A
	ds_read_b128 v[80:83], v10 offset:13056                    // 0000000053C8: D9FE3300 5000000A
	ds_read_b128 v[84:87], v10 offset:13568                    // 0000000053D0: D9FE3500 5400000A
	ds_read_b128 v[88:91], v10 offset:15232                    // 0000000053D8: D9FE3B80 5800000A
	ds_read_b128 v[92:95], v10 offset:15744                    // 0000000053E0: D9FE3D80 5C00000A
	ds_read_b128 v[96:99], v10 offset:17408                    // 0000000053E8: D9FE4400 6000000A
	ds_read_b128 v[100:103], v10 offset:17920                  // 0000000053F0: D9FE4600 6400000A
	ds_read_b32 v128, v21 offset:40704                         // 0000000053F8: D86C9F00 80000015
	ds_read_b32 v158, v21 offset:40960                         // 000000005400: D86CA000 9E000015
	v_accvgpr_write_b32 a96, 0                                 // 000000005408: D3D94060 18000080
	v_mov_b32_e32 v160, 0                                      // 000000005410: 7F400280
	v_accvgpr_write_b32 a97, 0                                 // 000000005414: D3D94061 18000080
	v_mov_b32_e32 v161, 0                                      // 00000000541C: 7F420280
	v_accvgpr_write_b32 a98, 0                                 // 000000005420: D3D94062 18000080
	v_mov_b32_e32 v162, 0                                      // 000000005428: 7F440280
	v_accvgpr_write_b32 a99, 0                                 // 00000000542C: D3D94063 18000080
	v_mov_b32_e32 v163, 0                                      // 000000005434: 7F460280
	v_accvgpr_write_b32 a100, 0                                // 000000005438: D3D94064 18000080
	v_mov_b32_e32 v164, 0                                      // 000000005440: 7F480280
	v_accvgpr_write_b32 a101, 0                                // 000000005444: D3D94065 18000080
	v_mov_b32_e32 v165, 0                                      // 00000000544C: 7F4A0280
	v_accvgpr_write_b32 a102, 0                                // 000000005450: D3D94066 18000080
	v_mov_b32_e32 v166, 0                                      // 000000005458: 7F4C0280
	v_accvgpr_write_b32 a103, 0                                // 00000000545C: D3D94067 18000080
	v_mov_b32_e32 v167, 0                                      // 000000005464: 7F4E0280
	v_accvgpr_write_b32 a104, 0                                // 000000005468: D3D94068 18000080
	v_mov_b32_e32 v168, 0                                      // 000000005470: 7F500280
	v_accvgpr_write_b32 a105, 0                                // 000000005474: D3D94069 18000080
	v_mov_b32_e32 v169, 0                                      // 00000000547C: 7F520280
	v_accvgpr_write_b32 a106, 0                                // 000000005480: D3D9406A 18000080
	v_mov_b32_e32 v170, 0                                      // 000000005488: 7F540280
	v_accvgpr_write_b32 a107, 0                                // 00000000548C: D3D9406B 18000080
	v_mov_b32_e32 v171, 0                                      // 000000005494: 7F560280
	v_accvgpr_write_b32 a108, 0                                // 000000005498: D3D9406C 18000080
	v_mov_b32_e32 v172, 0                                      // 0000000054A0: 7F580280
	v_accvgpr_write_b32 a109, 0                                // 0000000054A4: D3D9406D 18000080
	v_mov_b32_e32 v173, 0                                      // 0000000054AC: 7F5A0280
	v_accvgpr_write_b32 a110, 0                                // 0000000054B0: D3D9406E 18000080
	v_mov_b32_e32 v174, 0                                      // 0000000054B8: 7F5C0280
	v_accvgpr_write_b32 a111, 0                                // 0000000054BC: D3D9406F 18000080
	v_mov_b32_e32 v175, 0                                      // 0000000054C4: 7F5E0280
	v_accvgpr_write_b32 a112, 0                                // 0000000054C8: D3D94070 18000080
	v_mov_b32_e32 v176, 0                                      // 0000000054D0: 7F600280
	v_accvgpr_write_b32 a113, 0                                // 0000000054D4: D3D94071 18000080
	v_mov_b32_e32 v177, 0                                      // 0000000054DC: 7F620280
	v_accvgpr_write_b32 a114, 0                                // 0000000054E0: D3D94072 18000080
	v_mov_b32_e32 v178, 0                                      // 0000000054E8: 7F640280
	v_accvgpr_write_b32 a115, 0                                // 0000000054EC: D3D94073 18000080
	v_mov_b32_e32 v179, 0                                      // 0000000054F4: 7F660280
	v_accvgpr_write_b32 a116, 0                                // 0000000054F8: D3D94074 18000080
	v_mov_b32_e32 v180, 0                                      // 000000005500: 7F680280
	v_accvgpr_write_b32 a117, 0                                // 000000005504: D3D94075 18000080
	v_mov_b32_e32 v181, 0                                      // 00000000550C: 7F6A0280
	v_accvgpr_write_b32 a118, 0                                // 000000005510: D3D94076 18000080
	v_mov_b32_e32 v182, 0                                      // 000000005518: 7F6C0280
	v_accvgpr_write_b32 a119, 0                                // 00000000551C: D3D94077 18000080
	v_mov_b32_e32 v183, 0                                      // 000000005524: 7F6E0280
	v_accvgpr_write_b32 a120, 0                                // 000000005528: D3D94078 18000080
	v_mov_b32_e32 v184, 0                                      // 000000005530: 7F700280
	v_accvgpr_write_b32 a121, 0                                // 000000005534: D3D94079 18000080
	v_mov_b32_e32 v185, 0                                      // 00000000553C: 7F720280
	v_accvgpr_write_b32 a122, 0                                // 000000005540: D3D9407A 18000080
	v_mov_b32_e32 v186, 0                                      // 000000005548: 7F740280
	v_accvgpr_write_b32 a123, 0                                // 00000000554C: D3D9407B 18000080
	v_mov_b32_e32 v187, 0                                      // 000000005554: 7F760280
	v_accvgpr_write_b32 a124, 0                                // 000000005558: D3D9407C 18000080
	v_mov_b32_e32 v188, 0                                      // 000000005560: 7F780280
	v_accvgpr_write_b32 a125, 0                                // 000000005564: D3D9407D 18000080
	v_mov_b32_e32 v189, 0                                      // 00000000556C: 7F7A0280
	v_accvgpr_write_b32 a126, 0                                // 000000005570: D3D9407E 18000080
	v_mov_b32_e32 v190, 0                                      // 000000005578: 7F7C0280
	v_accvgpr_write_b32 a127, 0                                // 00000000557C: D3D9407F 18000080
	v_mov_b32_e32 v191, 0                                      // 000000005584: 7F7E0280
	v_accvgpr_write_b32 a128, 0                                // 000000005588: D3D94080 18000080
	v_mov_b32_e32 v192, 0                                      // 000000005590: 7F800280
	v_accvgpr_write_b32 a129, 0                                // 000000005594: D3D94081 18000080
	v_mov_b32_e32 v193, 0                                      // 00000000559C: 7F820280
	v_accvgpr_write_b32 a130, 0                                // 0000000055A0: D3D94082 18000080
	v_mov_b32_e32 v194, 0                                      // 0000000055A8: 7F840280
	v_accvgpr_write_b32 a131, 0                                // 0000000055AC: D3D94083 18000080
	v_mov_b32_e32 v195, 0                                      // 0000000055B4: 7F860280
	v_accvgpr_write_b32 a132, 0                                // 0000000055B8: D3D94084 18000080
	v_mov_b32_e32 v196, 0                                      // 0000000055C0: 7F880280
	v_accvgpr_write_b32 a133, 0                                // 0000000055C4: D3D94085 18000080
	v_mov_b32_e32 v197, 0                                      // 0000000055CC: 7F8A0280
	v_accvgpr_write_b32 a134, 0                                // 0000000055D0: D3D94086 18000080
	v_mov_b32_e32 v198, 0                                      // 0000000055D8: 7F8C0280
	v_accvgpr_write_b32 a135, 0                                // 0000000055DC: D3D94087 18000080
	v_mov_b32_e32 v199, 0                                      // 0000000055E4: 7F8E0280
	v_accvgpr_write_b32 a136, 0                                // 0000000055E8: D3D94088 18000080
	v_mov_b32_e32 v200, 0                                      // 0000000055F0: 7F900280
	v_accvgpr_write_b32 a137, 0                                // 0000000055F4: D3D94089 18000080
	v_mov_b32_e32 v201, 0                                      // 0000000055FC: 7F920280
	v_accvgpr_write_b32 a138, 0                                // 000000005600: D3D9408A 18000080
	v_mov_b32_e32 v202, 0                                      // 000000005608: 7F940280
	v_accvgpr_write_b32 a139, 0                                // 00000000560C: D3D9408B 18000080
	v_mov_b32_e32 v203, 0                                      // 000000005614: 7F960280
	v_accvgpr_write_b32 a140, 0                                // 000000005618: D3D9408C 18000080
	v_mov_b32_e32 v204, 0                                      // 000000005620: 7F980280
	v_accvgpr_write_b32 a141, 0                                // 000000005624: D3D9408D 18000080
	v_mov_b32_e32 v205, 0                                      // 00000000562C: 7F9A0280
	v_accvgpr_write_b32 a142, 0                                // 000000005630: D3D9408E 18000080
	v_mov_b32_e32 v206, 0                                      // 000000005638: 7F9C0280
	v_accvgpr_write_b32 a143, 0                                // 00000000563C: D3D9408F 18000080
	v_mov_b32_e32 v207, 0                                      // 000000005644: 7F9E0280
	v_mov_b32_e32 v144, 0                                      // 000000005648: 7F200280
	v_mov_b32_e32 v145, 0                                      // 00000000564C: 7F220280
	v_mov_b32_e32 v146, 0                                      // 000000005650: 7F240280
	v_mov_b32_e32 v147, 0                                      // 000000005654: 7F260280
	v_mov_b32_e32 v148, 0                                      // 000000005658: 7F280280
	v_mov_b32_e32 v149, 0                                      // 00000000565C: 7F2A0280
	v_mov_b32_e32 v150, 0                                      // 000000005660: 7F2C0280
	v_mov_b32_e32 v151, 0                                      // 000000005664: 7F2E0280
	v_mov_b32_e32 v152, 0                                      // 000000005668: 7F300280
	v_mov_b32_e32 v153, 0                                      // 00000000566C: 7F320280
	v_mov_b32_e32 v154, 0                                      // 000000005670: 7F340280
	v_mov_b32_e32 v155, 0                                      // 000000005674: 7F360280
	v_mov_b32_e32 v132, 0                                      // 000000005678: 7F080280
	v_mov_b32_e32 v133, 0                                      // 00000000567C: 7F0A0280
	v_mov_b32_e32 v134, 0                                      // 000000005680: 7F0C0280
	v_mov_b32_e32 v135, 0                                      // 000000005684: 7F0E0280
	v_mov_b32_e32 v136, 0                                      // 000000005688: 7F100280
	v_mov_b32_e32 v137, 0                                      // 00000000568C: 7F120280
	v_mov_b32_e32 v138, 0                                      // 000000005690: 7F140280
	v_mov_b32_e32 v139, 0                                      // 000000005694: 7F160280
	v_mov_b32_e32 v140, 0                                      // 000000005698: 7F180280
	v_mov_b32_e32 v141, 0                                      // 00000000569C: 7F1A0280
	v_mov_b32_e32 v142, 0                                      // 0000000056A0: 7F1C0280
	v_mov_b32_e32 v143, 0                                      // 0000000056A4: 7F1E0280
	s_waitcnt lgkmcnt(0)                                       // 0000000056A8: BF8CC07F
	s_barrier                                                  // 0000000056AC: BF8A0000
	buffer_load_dword v32, v1, s[8:11], 0 idxen                // 0000000056B0: E0502000 80022001
	buffer_load_dword v33, v2, s[8:11], 0 idxen                // 0000000056B8: E0502000 80022102
	buffer_load_dword v34, v1, s[8:11], 0 idxen offset:128     // 0000000056C0: E0502080 80022201
	buffer_load_dword v35, v2, s[8:11], 0 idxen offset:128     // 0000000056C8: E0502080 80022302
	v_mov_b32_e32 v36, 0                                       // 0000000056D0: 7E480280
	s_mov_b64 exec, s[88:89]                                   // 0000000056D4: BEFE0158
	buffer_load_dword v36, v1, s[8:11], 0 idxen offset:256     // 0000000056D8: E0502100 80022401
	s_mov_b64 exec, s[86:87]                                   // 0000000056E0: BEFE0156
	v_mov_b32_e32 v37, 0                                       // 0000000056E4: 7E4A0280
	s_mov_b64 exec, s[88:89]                                   // 0000000056E8: BEFE0158
	buffer_load_dword v37, v2, s[8:11], 0 idxen offset:256     // 0000000056EC: E0502100 80022502
	s_mov_b64 exec, s[86:87]                                   // 0000000056F4: BEFE0156
	buffer_load_dword v44, v212, s[20:23], 0 idxen             // 0000000056F8: E0502000 80052CD4
	buffer_load_dword v45, v213, s[20:23], 0 idxen             // 000000005700: E0502000 80052DD5
	buffer_load_dword v46, v212, s[20:23], 0 idxen offset:128  // 000000005708: E0502080 80052ED4
	buffer_load_dword v47, v213, s[20:23], 0 idxen offset:128  // 000000005710: E0502080 80052FD5
	v_mov_b32_e32 v48, 0                                       // 000000005718: 7E600280
	s_mov_b64 exec, s[88:89]                                   // 00000000571C: BEFE0158
	buffer_load_dword v48, v212, s[20:23], 0 idxen offset:256  // 000000005720: E0502100 800530D4
	s_mov_b64 exec, s[86:87]                                   // 000000005728: BEFE0156
	v_mov_b32_e32 v49, 0                                       // 00000000572C: 7E620280
	s_mov_b64 exec, s[88:89]                                   // 000000005730: BEFE0158
	buffer_load_dword v49, v213, s[20:23], 0 idxen offset:256  // 000000005734: E0502100 800531D5
	s_mov_b64 exec, s[86:87]                                   // 00000000573C: BEFE0156
	buffer_load_dword v9, s[24:27], 0 idxen lds                // 000000005740: E0512000 80060009
	s_mov_b32 m0, s77                                          // 000000005748: BEFC004D
	v_add_u32_e32 v9, s69, v9                                  // 00000000574C: 68121245
	v_add_u32_e32 v1, s68, v1                                  // 000000005750: 68020244
	v_add_u32_e32 v2, s68, v2                                  // 000000005754: 68040444
	v_add_u32_e32 v212, s97, v212                              // 000000005758: 69A9A861
	v_add_u32_e32 v213, s97, v213                              // 00000000575C: 69ABAA61
	v_mul_f32_e32 v128, s48, v128                              // 000000005760: 0B010030
	v_perm_b32 v68, v39, v38, s63                              // 000000005764: D1ED0044 00FE4D27
	v_perm_b32 v69, v39, v38, s64                              // 00000000576C: D1ED0045 01024D27
	v_perm_b32 v70, v41, v40, s63                              // 000000005774: D1ED0046 00FE5129
	v_perm_b32 v71, v41, v40, s64                              // 00000000577C: D1ED0047 01025129
	v_perm_b32 v72, v43, v42, s63                              // 000000005784: D1ED0048 00FE552B
	v_perm_b32 v73, v43, v42, s64                              // 00000000578C: D1ED0049 0102552B
	v_perm_b32 v74, v51, v50, s63                              // 000000005794: D1ED004A 00FE6533
	v_perm_b32 v75, v51, v50, s64                              // 00000000579C: D1ED004B 01026533
	v_perm_b32 v76, v53, v52, s63                              // 0000000057A4: D1ED004C 00FE6935
	v_perm_b32 v77, v53, v52, s64                              // 0000000057AC: D1ED004D 01026935
	v_perm_b32 v78, v55, v54, s63                              // 0000000057B4: D1ED004E 00FE6D37
	v_perm_b32 v79, v55, v54, s64                              // 0000000057BC: D1ED004F 01026D37
	v_mov_b32_dpp v131, v128 quad_perm:[3,3,3,3] row_mask:0xf bank_mask:0xf// 0000000057C4: 7F0602FA FF00FF80
	v_mov_b32_dpp v130, v128 quad_perm:[2,2,2,2] row_mask:0xf bank_mask:0xf// 0000000057CC: 7F0402FA FF00AA80
	v_mov_b32_dpp v129, v128 quad_perm:[1,1,1,1] row_mask:0xf bank_mask:0xf// 0000000057D4: 7F0202FA FF005580
	v_mov_b32_dpp v128, v128 quad_perm:[0,0,0,0] row_mask:0xf bank_mask:0xf// 0000000057DC: 7F0002FA FF000080
	s_waitcnt vmcnt(13)                                        // 0000000057E4: BF8C0F7D
	s_barrier                                                  // 0000000057E8: BF8A0000
	s_cmp_lt_i32 s46, 2                                        // 0000000057EC: BF04822E
	s_cbranch_scc0 label_0A17                                  // 0000000057F0: BF84041A
	s_nop 0                                                    // 0000000057F4: BF800000
	s_nop 0                                                    // 0000000057F8: BF800000

00000000000057fc <label_05FF>:
	s_waitcnt lgkmcnt(0)                                       // 0000000057FC: BF8CC07F
	s_barrier                                                  // 000000005800: BF8A0000
	v_mfma_f32_16x16x16_bf16 v[56:59], a[72:73], a[0:1], 0     // 000000005804: D3E10038 1A020148
	ds_write_b32 v11, v50 offset:13056                         // 00000000580C: D81A3300 0000320B
	ds_write_b32 v11, v51 offset:14112                         // 000000005814: D81A3720 0000330B
	ds_write_b32 v11, v52 offset:15232                         // 00000000581C: D81A3B80 0000340B
	v_mfma_f32_16x16x16_bf16 v[56:59], a[74:75], a[2:3], v[56:59]// 000000005824: D3E10038 1CE2054A
	v_mul_f32_e32 v132, s47, v132                              // 00000000582C: 0B09082F
	v_mul_f32_e32 v133, s47, v133                              // 000000005830: 0B0B0A2F
	v_mul_f32_e32 v134, s47, v134                              // 000000005834: 0B0D0C2F
	v_mul_f32_e32 v135, s47, v135                              // 000000005838: 0B0F0E2F
	v_mfma_f32_16x16x16_bf16 v[56:59], a[76:77], a[4:5], v[56:59]// 00000000583C: D3E10038 1CE2094C
	ds_write_b32 v11, v53 offset:16288                         // 000000005844: D81A3FA0 0000350B
	ds_write_b32 v11, v54 offset:17408                         // 00000000584C: D81A4400 0000360B
	ds_write_b32 v11, v55 offset:18464                         // 000000005854: D81A4820 0000370B
	v_mfma_f32_16x16x16_bf16 v[56:59], a[78:79], a[6:7], v[56:59]// 00000000585C: D3E10038 1CE20D4E
	v_mul_f32_e32 v136, s47, v136                              // 000000005864: 0B11102F
	v_mul_f32_e32 v137, s47, v137                              // 000000005868: 0B13122F
	v_mul_f32_e32 v138, s47, v138                              // 00000000586C: 0B15142F
	v_mul_f32_e32 v139, s47, v139                              // 000000005870: 0B17162F
	v_mfma_f32_16x16x16_bf16 v[56:59], a[80:81], a[8:9], v[56:59]// 000000005874: D3E10038 1CE21150
	ds_write_b64 v20, v[132:133] offset:28416                  // 00000000587C: D89A6F00 00008414
	ds_write_b64 v20, v[134:135] offset:28928                  // 000000005884: D89A7100 00008614
	v_mfma_f32_16x16x16_bf16 v[56:59], a[82:83], a[10:11], v[56:59]// 00000000588C: D3E10038 1CE21552
	v_mul_f32_e32 v140, s47, v140                              // 000000005894: 0B19182F
	v_mul_f32_e32 v141, s47, v141                              // 000000005898: 0B1B1A2F
	v_mul_f32_e32 v142, s47, v142                              // 00000000589C: 0B1D1C2F
	v_mul_f32_e32 v143, s47, v143                              // 0000000058A0: 0B1F1E2F
	v_mfma_f32_16x16x16_bf16 v[56:59], a[84:85], a[12:13], v[56:59]// 0000000058A4: D3E10038 1CE21954
	ds_write_b64 v20, v[136:137] offset:29440                  // 0000000058AC: D89A7300 00008814
	ds_write_b64 v20, v[138:139] offset:29952                  // 0000000058B4: D89A7500 00008A14
	v_mfma_f32_16x16x16_bf16 v[56:59], a[86:87], a[14:15], v[56:59]// 0000000058BC: D3E10038 1CE21D56
	ds_write_b64 v20, v[140:141] offset:30464                  // 0000000058C4: D89A7700 00008C14
	ds_write_b64 v20, v[142:143] offset:30976                  // 0000000058CC: D89A7900 00008E14
	v_mfma_f32_16x16x16_bf16 v[56:59], a[88:89], a[16:17], v[56:59]// 0000000058D4: D3E10038 1CE22158
	ds_read_b128 v[104:107], v12 offset:19584                  // 0000000058DC: D9FE4C80 6800000C
	v_mfma_f32_16x16x16_bf16 v[56:59], a[90:91], a[18:19], v[56:59]// 0000000058E4: D3E10038 1CE2255A
	ds_read_b128 v[108:111], v12 offset:20096                  // 0000000058EC: D9FE4E80 6C00000C
	v_mfma_f32_16x16x16_bf16 v[56:59], a[92:93], a[20:21], v[56:59]// 0000000058F4: D3E10038 1CE2295C
	ds_read_b128 v[112:115], v12 offset:21760                  // 0000000058FC: D9FE5500 7000000C
	ds_read_b128 v[116:119], v12 offset:22272                  // 000000005904: D9FE5700 7400000C
	v_mfma_f32_16x16x16_bf16 v[56:59], a[94:95], a[22:23], v[56:59]// 00000000590C: D3E10038 1CE22D5E
	ds_read_b128 v[120:123], v12 offset:23936                  // 000000005914: D9FE5D80 7800000C
	ds_read_b128 v[124:127], v12 offset:24448                  // 00000000591C: D9FE5F80 7C00000C
	s_cmp_lt_i32 s99, 64                                       // 000000005924: BF04C063
	s_cbranch_scc0 label_065A                                  // 000000005928: BF84000F
	v_and_b32_e32 v28, 15, v0                                  // 00000000592C: 2638008F
	v_mul_i32_i24_e64 v29, s46, 16                             // 000000005930: D106001D 0001202E
	v_add_u32_e32 v28, v28, v29                                // 000000005938: 68383B1C
	v_cmp_lt_u32_e64 s[60:61], v28, s99                        // 00000000593C: D0C9003C 0000C71C
	s_nop 1                                                    // 000000005944: BF800001
	v_cndmask_b32_e64 v56, v159, v56, s[60:61]                 // 000000005948: D1000038 00F2719F
	v_cndmask_b32_e64 v57, v159, v57, s[60:61]                 // 000000005950: D1000039 00F2739F
	v_cndmask_b32_e64 v58, v159, v58, s[60:61]                 // 000000005958: D100003A 00F2759F
	v_cndmask_b32_e64 v59, v159, v59, s[60:61]                 // 000000005960: D100003B 00F2779F

0000000000005968 <label_065A>:
	s_waitcnt lgkmcnt(6)                                       // 000000005968: BF8CC67F
	s_barrier                                                  // 00000000596C: BF8A0000
	v_mfma_f32_16x16x16_bf16 v[64:67], v[80:81], a[48:49], 0   // 000000005970: D3E10040 12026150
	ds_read_b128 a[72:75], v12 offset:6528                     // 000000005978: DBFE1980 4800000C
	ds_read_b128 a[76:79], v12 offset:7040                     // 000000005980: DBFE1B80 4C00000C
	ds_write_b32 v11, v38                                      // 000000005988: D81A0000 0000260B
	ds_write_b32 v11, v39 offset:1056                          // 000000005990: D81A0420 0000270B
	v_mfma_f32_16x16x16_bf16 v[64:67], v[82:83], a[50:51], v[64:67]// 000000005998: D3E10040 15026552
	v_fma_f32 v56, v56, s57, -v128                             // 0000000059A0: D1CB0038 86007338
	v_fma_f32 v57, v57, s57, -v129                             // 0000000059A8: D1CB0039 86047339
	v_fma_f32 v58, v58, s57, -v130                             // 0000000059B0: D1CB003A 8608733A
	v_fma_f32 v59, v59, s57, -v131                             // 0000000059B8: D1CB003B 860C733B
	v_mfma_f32_16x16x16_bf16 v[64:67], v[84:85], a[52:53], v[64:67]// 0000000059C0: D3E10040 15026954
	ds_read_b128 a[80:83], v12 offset:8704                     // 0000000059C8: DBFE2200 5000000C
	ds_read_b128 a[84:87], v12 offset:9216                     // 0000000059D0: DBFE2400 5400000C
	ds_write_b32 v11, v40 offset:2176                          // 0000000059D8: D81A0880 0000280B
	v_mfma_f32_16x16x16_bf16 v[64:67], v[86:87], a[54:55], v[64:67]// 0000000059E0: D3E10040 15026D56
	v_exp_f32_e32 v56, v56                                     // 0000000059E8: 7E704138
	v_mfma_f32_16x16x16_bf16 v[64:67], v[88:89], a[56:57], v[64:67]// 0000000059EC: D3E10040 15027158
	ds_read_b128 a[88:91], v12 offset:10880                    // 0000000059F4: DBFE2A80 5800000C
	ds_read_b128 a[92:95], v12 offset:11392                    // 0000000059FC: DBFE2C80 5C00000C
	ds_write_b32 v11, v41 offset:3232                          // 000000005A04: D81A0CA0 0000290B
	v_mfma_f32_16x16x16_bf16 v[64:67], v[90:91], a[58:59], v[64:67]// 000000005A0C: D3E10040 1502755A
	v_exp_f32_e32 v57, v57                                     // 000000005A14: 7E724139
	v_mfma_f32_16x16x16_bf16 v[64:67], v[92:93], a[60:61], v[64:67]// 000000005A18: D3E10040 1502795C
	ds_read_b64 v[144:145], v19 offset:28416                   // 000000005A20: D8EC6F00 90000013
	ds_read_b64 v[146:147], v19 offset:30464                   // 000000005A28: D8EC7700 92000013
	ds_read_b64 v[148:149], v19 offset:32512                   // 000000005A30: D8EC7F00 94000013
	ds_write_b32 v11, v42 offset:4352                          // 000000005A38: D81A1100 00002A0B
	v_mfma_f32_16x16x16_bf16 v[64:67], v[94:95], a[62:63], v[64:67]// 000000005A40: D3E10040 15027D5E
	v_exp_f32_e32 v58, v58                                     // 000000005A48: 7E74413A
	v_mfma_f32_16x16x16_bf16 v[64:67], v[96:97], a[64:65], v[64:67]// 000000005A4C: D3E10040 15028160
	ds_read_b64 v[150:151], v19 offset:34560                   // 000000005A54: D8EC8700 96000013
	ds_read_b64 v[152:153], v19 offset:36608                   // 000000005A5C: D8EC8F00 98000013
	ds_read_b64 v[154:155], v19 offset:38656                   // 000000005A64: D8EC9700 9A000013
	ds_write_b32 v11, v43 offset:5408                          // 000000005A6C: D81A1520 00002B0B
	v_mfma_f32_16x16x16_bf16 v[64:67], v[98:99], a[66:67], v[64:67]// 000000005A74: D3E10040 15028562
	v_exp_f32_e32 v59, v59                                     // 000000005A7C: 7E76413B
	v_mfma_f32_16x16x16_bf16 v[64:67], v[100:101], a[68:69], v[64:67]// 000000005A80: D3E10040 15028964
	v_cmp_u_f32_e64 s[74:75], v56, v56                         // 000000005A88: D048004A 00027138
	v_bfe_u32 v208, v56, 16, 1                                 // 000000005A90: D1C800D0 02052138
	v_add3_u32 v208, v56, v208, v211                           // 000000005A98: D1FF00D0 074FA138
	v_cndmask_b32_e64 v28, v208, v210, s[74:75]                // 000000005AA0: D100001C 012BA5D0
	v_lshrrev_b32_e32 v28, 16, v28                             // 000000005AA8: 20383890
	v_cmp_u_f32_e64 s[74:75], v57, v57                         // 000000005AAC: D048004A 00027339
	v_bfe_u32 v208, v57, 16, 1                                 // 000000005AB4: D1C800D0 02052139
	v_add3_u32 v208, v57, v208, v211                           // 000000005ABC: D1FF00D0 074FA139
	v_cndmask_b32_e64 v29, v208, v210, s[74:75]                // 000000005AC4: D100001D 012BA5D0
	v_and_or_b32 v156, v29, v209, v28                          // 000000005ACC: D201009C 0473A31D
	v_mfma_f32_16x16x16_bf16 v[64:67], v[102:103], a[70:71], v[64:67]// 000000005AD4: D3E10040 15028D66
	v_cmp_u_f32_e64 s[74:75], v58, v58                         // 000000005ADC: D048004A 0002753A
	v_bfe_u32 v208, v58, 16, 1                                 // 000000005AE4: D1C800D0 0205213A
	v_add3_u32 v208, v58, v208, v211                           // 000000005AEC: D1FF00D0 074FA13A
	v_cndmask_b32_e64 v28, v208, v210, s[74:75]                // 000000005AF4: D100001C 012BA5D0
	v_lshrrev_b32_e32 v28, 16, v28                             // 000000005AFC: 20383890
	v_cmp_u_f32_e64 s[74:75], v59, v59                         // 000000005B00: D048004A 0002773B
	v_bfe_u32 v208, v59, 16, 1                                 // 000000005B08: D1C800D0 0205213B
	v_add3_u32 v208, v59, v208, v211                           // 000000005B10: D1FF00D0 074FA13B
	v_cndmask_b32_e64 v29, v208, v210, s[74:75]                // 000000005B18: D100001D 012BA5D0
	v_and_or_b32 v157, v29, v209, v28                          // 000000005B20: D201009D 0473A31D
	v_add_u32_e32 v7, s66, v7                                  // 000000005B28: 680E0E42
	v_add_u32_e32 v8, s66, v8                                  // 000000005B2C: 68101042
	s_waitcnt lgkmcnt(0)                                       // 000000005B30: BF8CC07F
	s_barrier                                                  // 000000005B34: BF8A0000
	v_mfma_f32_16x16x16_bf16 v[160:163], v[104:105], v[156:157], v[160:163]// 000000005B38: D3E100A0 06833968
	v_subrev_f32_dpp v64, v158, v64 quad_perm:[0,0,0,0] row_mask:0xf bank_mask:0xf// 000000005B40: 068080FA FF00009E
	v_subrev_f32_dpp v65, v158, v65 quad_perm:[1,1,1,1] row_mask:0xf bank_mask:0xf// 000000005B48: 068282FA FF00559E
	buffer_atomic_add_f32 v144, v7, s[32:35], 0 offen          // 000000005B50: E1341000 80089007
	v_mfma_f32_16x16x16_bf16 v[164:167], v[106:107], v[156:157], v[164:167]// 000000005B58: D3E100A4 0693396A
	v_subrev_f32_dpp v66, v158, v66 quad_perm:[2,2,2,2] row_mask:0xf bank_mask:0xf// 000000005B60: 068484FA FF00AA9E
	v_subrev_f32_dpp v67, v158, v67 quad_perm:[3,3,3,3] row_mask:0xf bank_mask:0xf// 000000005B68: 068686FA FF00FF9E
	buffer_atomic_add_f32 v145, v8, s[32:35], 0 offen          // 000000005B70: E1341000 80089108
	v_mfma_f32_16x16x16_bf16 v[168:171], v[108:109], v[156:157], v[168:171]// 000000005B78: D3E100A8 06A3396C
	v_mul_f32_e32 v64, v56, v64                                // 000000005B80: 0A808138
	v_mul_f32_e32 v65, v57, v65                                // 000000005B84: 0A828339
	buffer_atomic_add_f32 v146, v7, s[32:35], 0 offen offset:128// 000000005B88: E1341080 80089207
	v_mfma_f32_16x16x16_bf16 v[172:175], v[110:111], v[156:157], v[172:175]// 000000005B90: D3E100AC 06B3396E
	v_mul_f32_e32 v66, v58, v66                                // 000000005B98: 0A84853A
	v_mul_f32_e32 v67, v59, v67                                // 000000005B9C: 0A86873B
	buffer_atomic_add_f32 v147, v8, s[32:35], 0 offen offset:128// 000000005BA0: E1341080 80089308
	v_mfma_f32_16x16x16_bf16 v[176:179], v[112:113], v[156:157], v[176:179]// 000000005BA8: D3E100B0 06C33970
	v_cmp_u_f32_e64 s[74:75], v64, v64                         // 000000005BB0: D048004A 00028140
	v_bfe_u32 v208, v64, 16, 1                                 // 000000005BB8: D1C800D0 02052140
	v_add3_u32 v208, v64, v208, v211                           // 000000005BC0: D1FF00D0 074FA140
	v_cndmask_b32_e64 v28, v208, v210, s[74:75]                // 000000005BC8: D100001C 012BA5D0
	v_lshrrev_b32_e32 v28, 16, v28                             // 000000005BD0: 20383890
	v_cmp_u_f32_e64 s[74:75], v65, v65                         // 000000005BD4: D048004A 00028341
	v_bfe_u32 v208, v65, 16, 1                                 // 000000005BDC: D1C800D0 02052141
	v_add3_u32 v208, v65, v208, v211                           // 000000005BE4: D1FF00D0 074FA141
	v_cndmask_b32_e64 v29, v208, v210, s[74:75]                // 000000005BEC: D100001D 012BA5D0
	v_and_or_b32 v64, v29, v209, v28                           // 000000005BF4: D2010040 0473A31D
	v_mfma_f32_16x16x16_bf16 v[180:183], v[114:115], v[156:157], v[180:183]// 000000005BFC: D3E100B4 06D33972
	v_cmp_u_f32_e64 s[74:75], v66, v66                         // 000000005C04: D048004A 00028542
	v_bfe_u32 v208, v66, 16, 1                                 // 000000005C0C: D1C800D0 02052142
	v_add3_u32 v208, v66, v208, v211                           // 000000005C14: D1FF00D0 074FA142
	v_cndmask_b32_e64 v28, v208, v210, s[74:75]                // 000000005C1C: D100001C 012BA5D0
	v_lshrrev_b32_e32 v28, 16, v28                             // 000000005C24: 20383890
	v_cmp_u_f32_e64 s[74:75], v67, v67                         // 000000005C28: D048004A 00028743
	v_bfe_u32 v208, v67, 16, 1                                 // 000000005C30: D1C800D0 02052143
	v_add3_u32 v208, v67, v208, v211                           // 000000005C38: D1FF00D0 074FA143
	v_cndmask_b32_e64 v29, v208, v210, s[74:75]                // 000000005C40: D100001D 012BA5D0
	v_and_or_b32 v65, v29, v209, v28                           // 000000005C48: D2010041 0473A31D
	v_mfma_f32_16x16x16_bf16 v[184:187], v[116:117], v[156:157], v[184:187]// 000000005C50: D3E100B8 06E33974
	v_mov_b32_dpp v16, v64 quad_perm:[1,0,3,2] row_mask:0xf bank_mask:0xf// 000000005C58: 7E2002FA FF00B140
	v_perm_b32 v56, v16, v64, v15                              // 000000005C60: D1ED0038 043E8110
	buffer_atomic_add_f32 v148, v7, s[32:35], 0 offen offset:256// 000000005C68: E1341100 80089407
	v_mfma_f32_16x16x16_bf16 v[188:191], v[118:119], v[156:157], v[188:191]// 000000005C70: D3E100BC 06F33976
	v_mov_b32_dpp v16, v65 quad_perm:[1,0,3,2] row_mask:0xf bank_mask:0xf// 000000005C78: 7E2002FA FF00B141
	v_perm_b32 v57, v16, v65, v15                              // 000000005C80: D1ED0039 043E8310
	buffer_atomic_add_f32 v149, v8, s[32:35], 0 offen offset:256// 000000005C88: E1341100 80089508
	v_mfma_f32_16x16x16_bf16 v[192:195], v[120:121], v[156:157], v[192:195]// 000000005C90: D3E100C0 07033978
	ds_write_b32 v13, v68 offset:6528                          // 000000005C98: D81A1980 0000440D
	ds_write_b32 v13, v69 offset:7584                          // 000000005CA0: D81A1DA0 0000450D
	v_mfma_f32_16x16x16_bf16 v[196:199], v[122:123], v[156:157], v[196:199]// 000000005CA8: D3E100C4 0713397A
	ds_write_b32 v18, v56 offset:26112                         // 000000005CB0: D81A6600 00003812
	ds_write_b32 v18, v57 offset:26656                         // 000000005CB8: D81A6820 00003912
	v_mfma_f32_16x16x16_bf16 v[200:203], v[124:125], v[156:157], v[200:203]// 000000005CC0: D3E100C8 0723397C
	ds_write_b32 v13, v70 offset:8704                          // 000000005CC8: D81A2200 0000460D
	ds_write_b32 v13, v71 offset:9760                          // 000000005CD0: D81A2620 0000470D
	v_mfma_f32_16x16x16_bf16 v[204:207], v[126:127], v[156:157], v[204:207]// 000000005CD8: D3E100CC 0733397E
	ds_write_b32 v13, v72 offset:10880                         // 000000005CE0: D81A2A80 0000480D
	ds_write_b32 v13, v73 offset:11936                         // 000000005CE8: D81A2EA0 0000490D
	s_barrier                                                  // 000000005CF0: BF8A0000
	v_mfma_f32_16x16x16_bf16 a[96:99], a[72:73], v[64:65], a[96:99]// 000000005CF4: D3E18060 0D828148
	buffer_atomic_add_f32 v150, v7, s[32:35], 0 offen offset:384// 000000005CFC: E1341180 80089607
	buffer_atomic_add_f32 v151, v8, s[32:35], 0 offen offset:384// 000000005D04: E1341180 80089708
	v_mfma_f32_16x16x16_bf16 a[100:103], a[74:75], v[64:65], a[100:103]// 000000005D0C: D3E18064 0D92814A
	ds_read_b32 v128, v21 offset:41216                         // 000000005D14: D86CA100 80000015
	ds_read_b32 v158, v21 offset:41472                         // 000000005D1C: D86CA200 9E000015
	v_mfma_f32_16x16x16_bf16 a[104:107], a[76:77], v[64:65], a[104:107]// 000000005D24: D3E18068 0DA2814C
	s_waitcnt lgkmcnt(6)                                       // 000000005D2C: BF8CC67F
	s_barrier                                                  // 000000005D30: BF8A0000
	v_mfma_f32_16x16x16_bf16 a[108:111], a[78:79], v[64:65], a[108:111]// 000000005D34: D3E1806C 0DB2814E
	ds_read_b128 v[56:59], v17 offset:26112                    // 000000005D3C: D9FE6600 38000011
	v_mfma_f32_16x16x16_bf16 a[112:115], a[80:81], v[64:65], a[112:115]// 000000005D44: D3E18070 0DC28150
	s_mov_b64 exec, s[92:93]                                   // 000000005D4C: BEFE015C
	buffer_atomic_add_f32 v152, v7, s[32:35], 0 offen offset:512// 000000005D50: E1341200 80089807
	s_mov_b64 exec, s[86:87]                                   // 000000005D58: BEFE0156
	v_mfma_f32_16x16x16_bf16 a[116:119], a[82:83], v[64:65], a[116:119]// 000000005D5C: D3E18074 0DD28152
	ds_read_b128 v[60:63], v17 offset:27264                    // 000000005D64: D9FE6A80 3C000011
	v_mfma_f32_16x16x16_bf16 a[120:123], a[84:85], v[64:65], a[120:123]// 000000005D6C: D3E18078 0DE28154
	s_mov_b64 exec, s[92:93]                                   // 000000005D74: BEFE015C
	buffer_atomic_add_f32 v153, v8, s[32:35], 0 offen offset:512// 000000005D78: E1341200 80089908
	s_mov_b64 exec, s[86:87]                                   // 000000005D80: BEFE0156
	v_mfma_f32_16x16x16_bf16 a[124:127], a[86:87], v[64:65], a[124:127]// 000000005D84: D3E1807C 0DF28156
	ds_write_b32 v13, v74 offset:19584                         // 000000005D8C: D81A4C80 00004A0D
	ds_write_b32 v13, v75 offset:20640                         // 000000005D94: D81A50A0 00004B0D
	v_mfma_f32_16x16x16_bf16 a[128:131], a[88:89], v[64:65], a[128:131]// 000000005D9C: D3E18080 0E028158
	s_mov_b64 exec, s[94:95]                                   // 000000005DA4: BEFE015E
	buffer_atomic_add_f32 v154, v7, s[32:35], 0 offen offset:640// 000000005DA8: E1341280 80089A07
	s_mov_b64 exec, s[86:87]                                   // 000000005DB0: BEFE0156
	v_mfma_f32_16x16x16_bf16 a[132:135], a[90:91], v[64:65], a[132:135]// 000000005DB4: D3E18084 0E12815A
	ds_write_b32 v13, v76 offset:21760                         // 000000005DBC: D81A5500 00004C0D
	ds_write_b32 v13, v77 offset:22816                         // 000000005DC4: D81A5920 00004D0D
	v_mfma_f32_16x16x16_bf16 a[136:139], a[92:93], v[64:65], a[136:139]// 000000005DCC: D3E18088 0E22815C
	s_mov_b64 exec, s[94:95]                                   // 000000005DD4: BEFE015E
	buffer_atomic_add_f32 v155, v8, s[32:35], 0 offen offset:640// 000000005DD8: E1341280 80089B08
	s_mov_b64 exec, s[86:87]                                   // 000000005DE0: BEFE0156
	v_mfma_f32_16x16x16_bf16 a[140:143], a[94:95], v[64:65], a[140:143]// 000000005DE4: D3E1808C 0E32815E
	ds_write_b32 v13, v78 offset:23936                         // 000000005DEC: D81A5D80 00004E0D
	ds_write_b32 v13, v79 offset:24992                         // 000000005DF4: D81A61A0 00004F0D
	s_waitcnt vmcnt(12) lgkmcnt(6)                             // 000000005DFC: BF8C067C
	s_barrier                                                  // 000000005E00: BF8A0000
	v_mfma_f32_16x16x16_bf16 v[132:135], v[56:57], a[24:25], 0 // 000000005E04: D3E10084 12023138
	v_mul_f32_e32 v128, s48, v128                              // 000000005E0C: 0B010030
	v_perm_b32 v68, v33, v32, s63                              // 000000005E10: D1ED0044 00FE4121
	v_perm_b32 v69, v33, v32, s64                              // 000000005E18: D1ED0045 01024121
	v_perm_b32 v70, v35, v34, s63                              // 000000005E20: D1ED0046 00FE4523
	v_mfma_f32_16x16x16_bf16 v[132:135], v[58:59], a[30:31], v[132:135]// 000000005E28: D3E10084 16123D3A
	ds_read_b128 a[72:75], v10                                 // 000000005E30: DBFE0000 4800000A
	ds_read_b128 a[76:79], v10 offset:512                      // 000000005E38: DBFE0200 4C00000A
	ds_read_b128 a[80:83], v10 offset:2176                     // 000000005E40: DBFE0880 5000000A
	buffer_load_dword v38, v1, s[8:11], 0 idxen                // 000000005E48: E0502000 80022601
	buffer_load_dword v39, v2, s[8:11], 0 idxen                // 000000005E50: E0502000 80022702
	v_mfma_f32_16x16x16_bf16 v[132:135], v[60:61], a[36:37], v[132:135]// 000000005E58: D3E10084 1612493C
	v_perm_b32 v71, v35, v34, s64                              // 000000005E60: D1ED0047 01024523
	v_perm_b32 v72, v37, v36, s63                              // 000000005E68: D1ED0048 00FE4925
	v_perm_b32 v73, v37, v36, s64                              // 000000005E70: D1ED0049 01024925
	v_mfma_f32_16x16x16_bf16 v[132:135], v[62:63], a[42:43], v[132:135]// 000000005E78: D3E10084 1612553E
	ds_read_b128 a[84:87], v10 offset:2688                     // 000000005E80: DBFE0A80 5400000A
	ds_read_b128 a[88:91], v10 offset:4352                     // 000000005E88: DBFE1100 5800000A
	ds_read_b128 a[92:95], v10 offset:4864                     // 000000005E90: DBFE1300 5C00000A
	buffer_load_dword v40, v1, s[8:11], 0 idxen offset:128     // 000000005E98: E0502080 80022801
	buffer_load_dword v41, v2, s[8:11], 0 idxen offset:128     // 000000005EA0: E0502080 80022902
	v_mfma_f32_16x16x16_bf16 v[136:139], v[56:57], a[26:27], 0 // 000000005EA8: D3E10088 12023538
	v_perm_b32 v74, v45, v44, s63                              // 000000005EB0: D1ED004A 00FE592D
	v_perm_b32 v75, v45, v44, s64                              // 000000005EB8: D1ED004B 0102592D
	v_perm_b32 v76, v47, v46, s63                              // 000000005EC0: D1ED004C 00FE5D2F
	v_mov_b32_dpp v131, v128 quad_perm:[3,3,3,3] row_mask:0xf bank_mask:0xf// 000000005EC8: 7F0602FA FF00FF80
	v_mov_b32_dpp v130, v128 quad_perm:[2,2,2,2] row_mask:0xf bank_mask:0xf// 000000005ED0: 7F0402FA FF00AA80
	v_mfma_f32_16x16x16_bf16 v[136:139], v[58:59], a[32:33], v[136:139]// 000000005ED8: D3E10088 1622413A
	ds_read_b128 v[80:83], v10 offset:13056                    // 000000005EE0: D9FE3300 5000000A
	ds_read_b128 v[84:87], v10 offset:13568                    // 000000005EE8: D9FE3500 5400000A
	ds_read_b128 v[88:91], v10 offset:15232                    // 000000005EF0: D9FE3B80 5800000A
	buffer_load_dword v50, v212, s[20:23], 0 idxen             // 000000005EF8: E0502000 800532D4
	buffer_load_dword v51, v213, s[20:23], 0 idxen             // 000000005F00: E0502000 800533D5
	v_mfma_f32_16x16x16_bf16 v[136:139], v[60:61], a[38:39], v[136:139]// 000000005F08: D3E10088 16224D3C
	v_perm_b32 v77, v47, v46, s64                              // 000000005F10: D1ED004D 01025D2F
	v_perm_b32 v78, v49, v48, s63                              // 000000005F18: D1ED004E 00FE6131
	v_perm_b32 v79, v49, v48, s64                              // 000000005F20: D1ED004F 01026131
	v_mov_b32_dpp v129, v128 quad_perm:[1,1,1,1] row_mask:0xf bank_mask:0xf// 000000005F28: 7F0202FA FF005580
	v_mov_b32_dpp v128, v128 quad_perm:[0,0,0,0] row_mask:0xf bank_mask:0xf// 000000005F30: 7F0002FA FF000080
	v_mfma_f32_16x16x16_bf16 v[136:139], v[62:63], a[44:45], v[136:139]// 000000005F38: D3E10088 1622593E
	ds_read_b128 v[92:95], v10 offset:15744                    // 000000005F40: D9FE3D80 5C00000A
	ds_read_b128 v[96:99], v10 offset:17408                    // 000000005F48: D9FE4400 6000000A
	ds_read_b128 v[100:103], v10 offset:17920                  // 000000005F50: D9FE4600 6400000A
	buffer_load_dword v52, v212, s[20:23], 0 idxen offset:128  // 000000005F58: E0502080 800534D4
	buffer_load_dword v53, v213, s[20:23], 0 idxen offset:128  // 000000005F60: E0502080 800535D5
	v_mfma_f32_16x16x16_bf16 v[140:143], v[56:57], a[28:29], 0 // 000000005F68: D3E1008C 12023938
	s_add_u32 s60, 64, s59                                     // 000000005F70: 803C3BC0
	s_cmp_lt_u32 s60, s58                                      // 000000005F74: BF0A3A3C
	s_cselect_b32 s68, s68, 0                                  // 000000005F78: 85448044
	s_cselect_b32 s97, s97, 0                                  // 000000005F7C: 85618061
	s_cselect_b32 s69, s69, 0                                  // 000000005F80: 85458045
	v_mfma_f32_16x16x16_bf16 v[140:143], v[58:59], a[34:35], v[140:143]// 000000005F84: D3E1008C 1632453A
	buffer_load_dword v9, s[24:27], 0 idxen lds                // 000000005F8C: E0512000 80060009
	v_mov_b32_e32 v42, 0                                       // 000000005F94: 7E540280
	s_mov_b64 exec, s[88:89]                                   // 000000005F98: BEFE0158
	buffer_load_dword v42, v1, s[8:11], 0 idxen offset:256     // 000000005F9C: E0502100 80022A01
	s_mov_b64 exec, s[86:87]                                   // 000000005FA4: BEFE0156
	v_mov_b32_e32 v43, 0                                       // 000000005FA8: 7E560280
	s_mov_b64 exec, s[88:89]                                   // 000000005FAC: BEFE0158
	buffer_load_dword v43, v2, s[8:11], 0 idxen offset:256     // 000000005FB0: E0502100 80022B02
	s_mov_b64 exec, s[86:87]                                   // 000000005FB8: BEFE0156
	v_mfma_f32_16x16x16_bf16 v[140:143], v[60:61], a[40:41], v[140:143]// 000000005FBC: D3E1008C 1632513C
	v_mov_b32_e32 v54, 0                                       // 000000005FC4: 7E6C0280
	s_mov_b64 exec, s[88:89]                                   // 000000005FC8: BEFE0158
	buffer_load_dword v54, v212, s[20:23], 0 idxen offset:256  // 000000005FCC: E0502100 800536D4
	s_mov_b64 exec, s[86:87]                                   // 000000005FD4: BEFE0156
	v_mov_b32_e32 v55, 0                                       // 000000005FD8: 7E6E0280
	s_mov_b64 exec, s[88:89]                                   // 000000005FDC: BEFE0158
	buffer_load_dword v55, v213, s[20:23], 0 idxen offset:256  // 000000005FE0: E0502100 800537D5
	s_mov_b64 exec, s[86:87]                                   // 000000005FE8: BEFE0156
	v_add_u32_e32 v1, s68, v1                                  // 000000005FEC: 68020244
	v_add_u32_e32 v2, s68, v2                                  // 000000005FF0: 68040444
	v_add_u32_e32 v212, s97, v212                              // 000000005FF4: 69A9A861
	v_add_u32_e32 v213, s97, v213                              // 000000005FF8: 69ABAA61
	s_mov_b32 m0, s76                                          // 000000005FFC: BEFC004C
	v_add_u32_e32 v9, s69, v9                                  // 000000006000: 68121245
	v_mfma_f32_16x16x16_bf16 v[140:143], v[62:63], a[46:47], v[140:143]// 000000006004: D3E1008C 16325D3E
	s_cmp_ge_u32 s59, 16                                       // 00000000600C: BF09903B
	s_cselect_b32 s66, s67, s66                                // 000000006010: 85424243
	s_addk_i32 s59, 0x10                                       // 000000006014: B73B0010
	s_nop 0                                                    // 000000006018: BF800000
	s_cmp_lt_i32 s59, s58                                      // 00000000601C: BF043A3B
	s_cbranch_scc0 label_0A14                                  // 000000006020: BF84020B
	s_waitcnt lgkmcnt(0)                                       // 000000006024: BF8CC07F
	s_barrier                                                  // 000000006028: BF8A0000
	v_mfma_f32_16x16x16_bf16 v[56:59], a[72:73], a[0:1], 0     // 00000000602C: D3E10038 1A020148
	ds_write_b32 v11, v44 offset:13056                         // 000000006034: D81A3300 00002C0B
	ds_write_b32 v11, v45 offset:14112                         // 00000000603C: D81A3720 00002D0B
	ds_write_b32 v11, v46 offset:15232                         // 000000006044: D81A3B80 00002E0B
	v_mfma_f32_16x16x16_bf16 v[56:59], a[74:75], a[2:3], v[56:59]// 00000000604C: D3E10038 1CE2054A
	v_mul_f32_e32 v132, s47, v132                              // 000000006054: 0B09082F
	v_mul_f32_e32 v133, s47, v133                              // 000000006058: 0B0B0A2F
	v_mul_f32_e32 v134, s47, v134                              // 00000000605C: 0B0D0C2F
	v_mul_f32_e32 v135, s47, v135                              // 000000006060: 0B0F0E2F
	v_mfma_f32_16x16x16_bf16 v[56:59], a[76:77], a[4:5], v[56:59]// 000000006064: D3E10038 1CE2094C
	ds_write_b32 v11, v47 offset:16288                         // 00000000606C: D81A3FA0 00002F0B
	ds_write_b32 v11, v48 offset:17408                         // 000000006074: D81A4400 0000300B
	ds_write_b32 v11, v49 offset:18464                         // 00000000607C: D81A4820 0000310B
	v_mfma_f32_16x16x16_bf16 v[56:59], a[78:79], a[6:7], v[56:59]// 000000006084: D3E10038 1CE20D4E
	v_mul_f32_e32 v136, s47, v136                              // 00000000608C: 0B11102F
	v_mul_f32_e32 v137, s47, v137                              // 000000006090: 0B13122F
	v_mul_f32_e32 v138, s47, v138                              // 000000006094: 0B15142F
	v_mul_f32_e32 v139, s47, v139                              // 000000006098: 0B17162F
	v_mfma_f32_16x16x16_bf16 v[56:59], a[80:81], a[8:9], v[56:59]// 00000000609C: D3E10038 1CE21150
	ds_write_b64 v20, v[132:133] offset:28416                  // 0000000060A4: D89A6F00 00008414
	ds_write_b64 v20, v[134:135] offset:28928                  // 0000000060AC: D89A7100 00008614
	v_mfma_f32_16x16x16_bf16 v[56:59], a[82:83], a[10:11], v[56:59]// 0000000060B4: D3E10038 1CE21552
	v_mul_f32_e32 v140, s47, v140                              // 0000000060BC: 0B19182F
	v_mul_f32_e32 v141, s47, v141                              // 0000000060C0: 0B1B1A2F
	v_mul_f32_e32 v142, s47, v142                              // 0000000060C4: 0B1D1C2F
	v_mul_f32_e32 v143, s47, v143                              // 0000000060C8: 0B1F1E2F
	v_mfma_f32_16x16x16_bf16 v[56:59], a[84:85], a[12:13], v[56:59]// 0000000060CC: D3E10038 1CE21954
	ds_write_b64 v20, v[136:137] offset:29440                  // 0000000060D4: D89A7300 00008814
	ds_write_b64 v20, v[138:139] offset:29952                  // 0000000060DC: D89A7500 00008A14
	v_mfma_f32_16x16x16_bf16 v[56:59], a[86:87], a[14:15], v[56:59]// 0000000060E4: D3E10038 1CE21D56
	ds_write_b64 v20, v[140:141] offset:30464                  // 0000000060EC: D89A7700 00008C14
	ds_write_b64 v20, v[142:143] offset:30976                  // 0000000060F4: D89A7900 00008E14
	v_mfma_f32_16x16x16_bf16 v[56:59], a[88:89], a[16:17], v[56:59]// 0000000060FC: D3E10038 1CE22158
	ds_read_b128 v[104:107], v12 offset:19584                  // 000000006104: D9FE4C80 6800000C
	v_mfma_f32_16x16x16_bf16 v[56:59], a[90:91], a[18:19], v[56:59]// 00000000610C: D3E10038 1CE2255A
	ds_read_b128 v[108:111], v12 offset:20096                  // 000000006114: D9FE4E80 6C00000C
	v_mfma_f32_16x16x16_bf16 v[56:59], a[92:93], a[20:21], v[56:59]// 00000000611C: D3E10038 1CE2295C
	ds_read_b128 v[112:115], v12 offset:21760                  // 000000006124: D9FE5500 7000000C
	ds_read_b128 v[116:119], v12 offset:22272                  // 00000000612C: D9FE5700 7400000C
	v_mfma_f32_16x16x16_bf16 v[56:59], a[94:95], a[22:23], v[56:59]// 000000006134: D3E10038 1CE22D5E
	ds_read_b128 v[120:123], v12 offset:23936                  // 00000000613C: D9FE5D80 7800000C
	ds_read_b128 v[124:127], v12 offset:24448                  // 000000006144: D9FE5F80 7C00000C
	s_cmp_lt_i32 s99, 64                                       // 00000000614C: BF04C063
	s_cbranch_scc0 label_0864                                  // 000000006150: BF84000F
	v_and_b32_e32 v28, 15, v0                                  // 000000006154: 2638008F
	v_mul_i32_i24_e64 v29, s46, 16                             // 000000006158: D106001D 0001202E
	v_add_u32_e32 v28, v28, v29                                // 000000006160: 68383B1C
	v_cmp_lt_u32_e64 s[60:61], v28, s99                        // 000000006164: D0C9003C 0000C71C
	s_nop 1                                                    // 00000000616C: BF800001
	v_cndmask_b32_e64 v56, v159, v56, s[60:61]                 // 000000006170: D1000038 00F2719F
	v_cndmask_b32_e64 v57, v159, v57, s[60:61]                 // 000000006178: D1000039 00F2739F
	v_cndmask_b32_e64 v58, v159, v58, s[60:61]                 // 000000006180: D100003A 00F2759F
	v_cndmask_b32_e64 v59, v159, v59, s[60:61]                 // 000000006188: D100003B 00F2779F

0000000000006190 <label_0864>:
	s_waitcnt lgkmcnt(6)                                       // 000000006190: BF8CC67F
	s_barrier                                                  // 000000006194: BF8A0000
	v_mfma_f32_16x16x16_bf16 v[64:67], v[80:81], a[48:49], 0   // 000000006198: D3E10040 12026150
	ds_read_b128 a[72:75], v12 offset:6528                     // 0000000061A0: DBFE1980 4800000C
	ds_read_b128 a[76:79], v12 offset:7040                     // 0000000061A8: DBFE1B80 4C00000C
	ds_write_b32 v11, v32                                      // 0000000061B0: D81A0000 0000200B
	ds_write_b32 v11, v33 offset:1056                          // 0000000061B8: D81A0420 0000210B
	v_mfma_f32_16x16x16_bf16 v[64:67], v[82:83], a[50:51], v[64:67]// 0000000061C0: D3E10040 15026552
	v_fma_f32 v56, v56, s57, -v128                             // 0000000061C8: D1CB0038 86007338
	v_fma_f32 v57, v57, s57, -v129                             // 0000000061D0: D1CB0039 86047339
	v_fma_f32 v58, v58, s57, -v130                             // 0000000061D8: D1CB003A 8608733A
	v_fma_f32 v59, v59, s57, -v131                             // 0000000061E0: D1CB003B 860C733B
	v_mfma_f32_16x16x16_bf16 v[64:67], v[84:85], a[52:53], v[64:67]// 0000000061E8: D3E10040 15026954
	ds_read_b128 a[80:83], v12 offset:8704                     // 0000000061F0: DBFE2200 5000000C
	ds_read_b128 a[84:87], v12 offset:9216                     // 0000000061F8: DBFE2400 5400000C
	ds_write_b32 v11, v34 offset:2176                          // 000000006200: D81A0880 0000220B
	v_mfma_f32_16x16x16_bf16 v[64:67], v[86:87], a[54:55], v[64:67]// 000000006208: D3E10040 15026D56
	v_exp_f32_e32 v56, v56                                     // 000000006210: 7E704138
	v_mfma_f32_16x16x16_bf16 v[64:67], v[88:89], a[56:57], v[64:67]// 000000006214: D3E10040 15027158
	ds_read_b128 a[88:91], v12 offset:10880                    // 00000000621C: DBFE2A80 5800000C
	ds_read_b128 a[92:95], v12 offset:11392                    // 000000006224: DBFE2C80 5C00000C
	ds_write_b32 v11, v35 offset:3232                          // 00000000622C: D81A0CA0 0000230B
	v_mfma_f32_16x16x16_bf16 v[64:67], v[90:91], a[58:59], v[64:67]// 000000006234: D3E10040 1502755A
	v_exp_f32_e32 v57, v57                                     // 00000000623C: 7E724139
	v_mfma_f32_16x16x16_bf16 v[64:67], v[92:93], a[60:61], v[64:67]// 000000006240: D3E10040 1502795C
	ds_read_b64 v[144:145], v19 offset:28416                   // 000000006248: D8EC6F00 90000013
	ds_read_b64 v[146:147], v19 offset:30464                   // 000000006250: D8EC7700 92000013
	ds_read_b64 v[148:149], v19 offset:32512                   // 000000006258: D8EC7F00 94000013
	ds_write_b32 v11, v36 offset:4352                          // 000000006260: D81A1100 0000240B
	v_mfma_f32_16x16x16_bf16 v[64:67], v[94:95], a[62:63], v[64:67]// 000000006268: D3E10040 15027D5E
	v_exp_f32_e32 v58, v58                                     // 000000006270: 7E74413A
	v_mfma_f32_16x16x16_bf16 v[64:67], v[96:97], a[64:65], v[64:67]// 000000006274: D3E10040 15028160
	ds_read_b64 v[150:151], v19 offset:34560                   // 00000000627C: D8EC8700 96000013
	ds_read_b64 v[152:153], v19 offset:36608                   // 000000006284: D8EC8F00 98000013
	ds_read_b64 v[154:155], v19 offset:38656                   // 00000000628C: D8EC9700 9A000013
	ds_write_b32 v11, v37 offset:5408                          // 000000006294: D81A1520 0000250B
	v_mfma_f32_16x16x16_bf16 v[64:67], v[98:99], a[66:67], v[64:67]// 00000000629C: D3E10040 15028562
	v_exp_f32_e32 v59, v59                                     // 0000000062A4: 7E76413B
	v_mfma_f32_16x16x16_bf16 v[64:67], v[100:101], a[68:69], v[64:67]// 0000000062A8: D3E10040 15028964
	v_cmp_u_f32_e64 s[74:75], v56, v56                         // 0000000062B0: D048004A 00027138
	v_bfe_u32 v208, v56, 16, 1                                 // 0000000062B8: D1C800D0 02052138
	v_add3_u32 v208, v56, v208, v211                           // 0000000062C0: D1FF00D0 074FA138
	v_cndmask_b32_e64 v28, v208, v210, s[74:75]                // 0000000062C8: D100001C 012BA5D0
	v_lshrrev_b32_e32 v28, 16, v28                             // 0000000062D0: 20383890
	v_cmp_u_f32_e64 s[74:75], v57, v57                         // 0000000062D4: D048004A 00027339
	v_bfe_u32 v208, v57, 16, 1                                 // 0000000062DC: D1C800D0 02052139
	v_add3_u32 v208, v57, v208, v211                           // 0000000062E4: D1FF00D0 074FA139
	v_cndmask_b32_e64 v29, v208, v210, s[74:75]                // 0000000062EC: D100001D 012BA5D0
	v_and_or_b32 v156, v29, v209, v28                          // 0000000062F4: D201009C 0473A31D
	v_mfma_f32_16x16x16_bf16 v[64:67], v[102:103], a[70:71], v[64:67]// 0000000062FC: D3E10040 15028D66
	v_cmp_u_f32_e64 s[74:75], v58, v58                         // 000000006304: D048004A 0002753A
	v_bfe_u32 v208, v58, 16, 1                                 // 00000000630C: D1C800D0 0205213A
	v_add3_u32 v208, v58, v208, v211                           // 000000006314: D1FF00D0 074FA13A
	v_cndmask_b32_e64 v28, v208, v210, s[74:75]                // 00000000631C: D100001C 012BA5D0
	v_lshrrev_b32_e32 v28, 16, v28                             // 000000006324: 20383890
	v_cmp_u_f32_e64 s[74:75], v59, v59                         // 000000006328: D048004A 0002773B
	v_bfe_u32 v208, v59, 16, 1                                 // 000000006330: D1C800D0 0205213B
	v_add3_u32 v208, v59, v208, v211                           // 000000006338: D1FF00D0 074FA13B
	v_cndmask_b32_e64 v29, v208, v210, s[74:75]                // 000000006340: D100001D 012BA5D0
	v_and_or_b32 v157, v29, v209, v28                          // 000000006348: D201009D 0473A31D
	v_add_u32_e32 v7, s66, v7                                  // 000000006350: 680E0E42
	v_add_u32_e32 v8, s66, v8                                  // 000000006354: 68101042
	s_waitcnt lgkmcnt(0)                                       // 000000006358: BF8CC07F
	s_barrier                                                  // 00000000635C: BF8A0000
	v_mfma_f32_16x16x16_bf16 v[160:163], v[104:105], v[156:157], v[160:163]// 000000006360: D3E100A0 06833968
	v_subrev_f32_dpp v64, v158, v64 quad_perm:[0,0,0,0] row_mask:0xf bank_mask:0xf// 000000006368: 068080FA FF00009E
	v_subrev_f32_dpp v65, v158, v65 quad_perm:[1,1,1,1] row_mask:0xf bank_mask:0xf// 000000006370: 068282FA FF00559E
	buffer_atomic_add_f32 v144, v7, s[32:35], 0 offen          // 000000006378: E1341000 80089007
	v_mfma_f32_16x16x16_bf16 v[164:167], v[106:107], v[156:157], v[164:167]// 000000006380: D3E100A4 0693396A
	v_subrev_f32_dpp v66, v158, v66 quad_perm:[2,2,2,2] row_mask:0xf bank_mask:0xf// 000000006388: 068484FA FF00AA9E
	v_subrev_f32_dpp v67, v158, v67 quad_perm:[3,3,3,3] row_mask:0xf bank_mask:0xf// 000000006390: 068686FA FF00FF9E
	buffer_atomic_add_f32 v145, v8, s[32:35], 0 offen          // 000000006398: E1341000 80089108
	v_mfma_f32_16x16x16_bf16 v[168:171], v[108:109], v[156:157], v[168:171]// 0000000063A0: D3E100A8 06A3396C
	v_mul_f32_e32 v64, v56, v64                                // 0000000063A8: 0A808138
	v_mul_f32_e32 v65, v57, v65                                // 0000000063AC: 0A828339
	buffer_atomic_add_f32 v146, v7, s[32:35], 0 offen offset:128// 0000000063B0: E1341080 80089207
	v_mfma_f32_16x16x16_bf16 v[172:175], v[110:111], v[156:157], v[172:175]// 0000000063B8: D3E100AC 06B3396E
	v_mul_f32_e32 v66, v58, v66                                // 0000000063C0: 0A84853A
	v_mul_f32_e32 v67, v59, v67                                // 0000000063C4: 0A86873B
	buffer_atomic_add_f32 v147, v8, s[32:35], 0 offen offset:128// 0000000063C8: E1341080 80089308
	v_mfma_f32_16x16x16_bf16 v[176:179], v[112:113], v[156:157], v[176:179]// 0000000063D0: D3E100B0 06C33970
	v_cmp_u_f32_e64 s[74:75], v64, v64                         // 0000000063D8: D048004A 00028140
	v_bfe_u32 v208, v64, 16, 1                                 // 0000000063E0: D1C800D0 02052140
	v_add3_u32 v208, v64, v208, v211                           // 0000000063E8: D1FF00D0 074FA140
	v_cndmask_b32_e64 v28, v208, v210, s[74:75]                // 0000000063F0: D100001C 012BA5D0
	v_lshrrev_b32_e32 v28, 16, v28                             // 0000000063F8: 20383890
	v_cmp_u_f32_e64 s[74:75], v65, v65                         // 0000000063FC: D048004A 00028341
	v_bfe_u32 v208, v65, 16, 1                                 // 000000006404: D1C800D0 02052141
	v_add3_u32 v208, v65, v208, v211                           // 00000000640C: D1FF00D0 074FA141
	v_cndmask_b32_e64 v29, v208, v210, s[74:75]                // 000000006414: D100001D 012BA5D0
	v_and_or_b32 v64, v29, v209, v28                           // 00000000641C: D2010040 0473A31D
	v_mfma_f32_16x16x16_bf16 v[180:183], v[114:115], v[156:157], v[180:183]// 000000006424: D3E100B4 06D33972
	v_cmp_u_f32_e64 s[74:75], v66, v66                         // 00000000642C: D048004A 00028542
	v_bfe_u32 v208, v66, 16, 1                                 // 000000006434: D1C800D0 02052142
	v_add3_u32 v208, v66, v208, v211                           // 00000000643C: D1FF00D0 074FA142
	v_cndmask_b32_e64 v28, v208, v210, s[74:75]                // 000000006444: D100001C 012BA5D0
	v_lshrrev_b32_e32 v28, 16, v28                             // 00000000644C: 20383890
	v_cmp_u_f32_e64 s[74:75], v67, v67                         // 000000006450: D048004A 00028743
	v_bfe_u32 v208, v67, 16, 1                                 // 000000006458: D1C800D0 02052143
	v_add3_u32 v208, v67, v208, v211                           // 000000006460: D1FF00D0 074FA143
	v_cndmask_b32_e64 v29, v208, v210, s[74:75]                // 000000006468: D100001D 012BA5D0
	v_and_or_b32 v65, v29, v209, v28                           // 000000006470: D2010041 0473A31D
	v_mfma_f32_16x16x16_bf16 v[184:187], v[116:117], v[156:157], v[184:187]// 000000006478: D3E100B8 06E33974
	v_mov_b32_dpp v16, v64 quad_perm:[1,0,3,2] row_mask:0xf bank_mask:0xf// 000000006480: 7E2002FA FF00B140
	v_perm_b32 v56, v16, v64, v15                              // 000000006488: D1ED0038 043E8110
	buffer_atomic_add_f32 v148, v7, s[32:35], 0 offen offset:256// 000000006490: E1341100 80089407
	v_mfma_f32_16x16x16_bf16 v[188:191], v[118:119], v[156:157], v[188:191]// 000000006498: D3E100BC 06F33976
	v_mov_b32_dpp v16, v65 quad_perm:[1,0,3,2] row_mask:0xf bank_mask:0xf// 0000000064A0: 7E2002FA FF00B141
	v_perm_b32 v57, v16, v65, v15                              // 0000000064A8: D1ED0039 043E8310
	buffer_atomic_add_f32 v149, v8, s[32:35], 0 offen offset:256// 0000000064B0: E1341100 80089508
	v_mfma_f32_16x16x16_bf16 v[192:195], v[120:121], v[156:157], v[192:195]// 0000000064B8: D3E100C0 07033978
	ds_write_b32 v13, v68 offset:6528                          // 0000000064C0: D81A1980 0000440D
	ds_write_b32 v13, v69 offset:7584                          // 0000000064C8: D81A1DA0 0000450D
	v_mfma_f32_16x16x16_bf16 v[196:199], v[122:123], v[156:157], v[196:199]// 0000000064D0: D3E100C4 0713397A
	ds_write_b32 v18, v56 offset:26112                         // 0000000064D8: D81A6600 00003812
	ds_write_b32 v18, v57 offset:26656                         // 0000000064E0: D81A6820 00003912
	v_mfma_f32_16x16x16_bf16 v[200:203], v[124:125], v[156:157], v[200:203]// 0000000064E8: D3E100C8 0723397C
	ds_write_b32 v13, v70 offset:8704                          // 0000000064F0: D81A2200 0000460D
	ds_write_b32 v13, v71 offset:9760                          // 0000000064F8: D81A2620 0000470D
	v_mfma_f32_16x16x16_bf16 v[204:207], v[126:127], v[156:157], v[204:207]// 000000006500: D3E100CC 0733397E
	ds_write_b32 v13, v72 offset:10880                         // 000000006508: D81A2A80 0000480D
	ds_write_b32 v13, v73 offset:11936                         // 000000006510: D81A2EA0 0000490D
	s_barrier                                                  // 000000006518: BF8A0000
	v_mfma_f32_16x16x16_bf16 a[96:99], a[72:73], v[64:65], a[96:99]// 00000000651C: D3E18060 0D828148
	buffer_atomic_add_f32 v150, v7, s[32:35], 0 offen offset:384// 000000006524: E1341180 80089607
	buffer_atomic_add_f32 v151, v8, s[32:35], 0 offen offset:384// 00000000652C: E1341180 80089708
	v_mfma_f32_16x16x16_bf16 a[100:103], a[74:75], v[64:65], a[100:103]// 000000006534: D3E18064 0D92814A
	ds_read_b32 v128, v21 offset:40704                         // 00000000653C: D86C9F00 80000015
	ds_read_b32 v158, v21 offset:40960                         // 000000006544: D86CA000 9E000015
	v_mfma_f32_16x16x16_bf16 a[104:107], a[76:77], v[64:65], a[104:107]// 00000000654C: D3E18068 0DA2814C
	s_waitcnt lgkmcnt(6)                                       // 000000006554: BF8CC67F
	s_barrier                                                  // 000000006558: BF8A0000
	v_mfma_f32_16x16x16_bf16 a[108:111], a[78:79], v[64:65], a[108:111]// 00000000655C: D3E1806C 0DB2814E
	ds_read_b128 v[56:59], v17 offset:26112                    // 000000006564: D9FE6600 38000011
	v_mfma_f32_16x16x16_bf16 a[112:115], a[80:81], v[64:65], a[112:115]// 00000000656C: D3E18070 0DC28150
	s_mov_b64 exec, s[92:93]                                   // 000000006574: BEFE015C
	buffer_atomic_add_f32 v152, v7, s[32:35], 0 offen offset:512// 000000006578: E1341200 80089807
	s_mov_b64 exec, s[86:87]                                   // 000000006580: BEFE0156
	v_mfma_f32_16x16x16_bf16 a[116:119], a[82:83], v[64:65], a[116:119]// 000000006584: D3E18074 0DD28152
	ds_read_b128 v[60:63], v17 offset:27264                    // 00000000658C: D9FE6A80 3C000011
	v_mfma_f32_16x16x16_bf16 a[120:123], a[84:85], v[64:65], a[120:123]// 000000006594: D3E18078 0DE28154
	s_mov_b64 exec, s[92:93]                                   // 00000000659C: BEFE015C
	buffer_atomic_add_f32 v153, v8, s[32:35], 0 offen offset:512// 0000000065A0: E1341200 80089908
	s_mov_b64 exec, s[86:87]                                   // 0000000065A8: BEFE0156
	v_mfma_f32_16x16x16_bf16 a[124:127], a[86:87], v[64:65], a[124:127]// 0000000065AC: D3E1807C 0DF28156
	ds_write_b32 v13, v74 offset:19584                         // 0000000065B4: D81A4C80 00004A0D
	ds_write_b32 v13, v75 offset:20640                         // 0000000065BC: D81A50A0 00004B0D
	v_mfma_f32_16x16x16_bf16 a[128:131], a[88:89], v[64:65], a[128:131]// 0000000065C4: D3E18080 0E028158
	s_mov_b64 exec, s[94:95]                                   // 0000000065CC: BEFE015E
	buffer_atomic_add_f32 v154, v7, s[32:35], 0 offen offset:640// 0000000065D0: E1341280 80089A07
	s_mov_b64 exec, s[86:87]                                   // 0000000065D8: BEFE0156
	v_mfma_f32_16x16x16_bf16 a[132:135], a[90:91], v[64:65], a[132:135]// 0000000065DC: D3E18084 0E12815A
	ds_write_b32 v13, v76 offset:21760                         // 0000000065E4: D81A5500 00004C0D
	ds_write_b32 v13, v77 offset:22816                         // 0000000065EC: D81A5920 00004D0D
	v_mfma_f32_16x16x16_bf16 a[136:139], a[92:93], v[64:65], a[136:139]// 0000000065F4: D3E18088 0E22815C
	s_mov_b64 exec, s[94:95]                                   // 0000000065FC: BEFE015E
	buffer_atomic_add_f32 v155, v8, s[32:35], 0 offen offset:640// 000000006600: E1341280 80089B08
	s_mov_b64 exec, s[86:87]                                   // 000000006608: BEFE0156
	v_mfma_f32_16x16x16_bf16 a[140:143], a[94:95], v[64:65], a[140:143]// 00000000660C: D3E1808C 0E32815E
	ds_write_b32 v13, v78 offset:23936                         // 000000006614: D81A5D80 00004E0D
	ds_write_b32 v13, v79 offset:24992                         // 00000000661C: D81A61A0 00004F0D
	s_waitcnt vmcnt(12) lgkmcnt(6)                             // 000000006624: BF8C067C
	s_barrier                                                  // 000000006628: BF8A0000
	v_mfma_f32_16x16x16_bf16 v[132:135], v[56:57], a[24:25], 0 // 00000000662C: D3E10084 12023138
	v_mul_f32_e32 v128, s48, v128                              // 000000006634: 0B010030
	v_perm_b32 v68, v39, v38, s63                              // 000000006638: D1ED0044 00FE4D27
	v_perm_b32 v69, v39, v38, s64                              // 000000006640: D1ED0045 01024D27
	v_perm_b32 v70, v41, v40, s63                              // 000000006648: D1ED0046 00FE5129
	v_mfma_f32_16x16x16_bf16 v[132:135], v[58:59], a[30:31], v[132:135]// 000000006650: D3E10084 16123D3A
	ds_read_b128 a[72:75], v10                                 // 000000006658: DBFE0000 4800000A
	ds_read_b128 a[76:79], v10 offset:512                      // 000000006660: DBFE0200 4C00000A
	ds_read_b128 a[80:83], v10 offset:2176                     // 000000006668: DBFE0880 5000000A
	buffer_load_dword v32, v1, s[8:11], 0 idxen                // 000000006670: E0502000 80022001
	buffer_load_dword v33, v2, s[8:11], 0 idxen                // 000000006678: E0502000 80022102
	v_mfma_f32_16x16x16_bf16 v[132:135], v[60:61], a[36:37], v[132:135]// 000000006680: D3E10084 1612493C
	v_perm_b32 v71, v41, v40, s64                              // 000000006688: D1ED0047 01025129
	v_perm_b32 v72, v43, v42, s63                              // 000000006690: D1ED0048 00FE552B
	v_perm_b32 v73, v43, v42, s64                              // 000000006698: D1ED0049 0102552B
	v_mfma_f32_16x16x16_bf16 v[132:135], v[62:63], a[42:43], v[132:135]// 0000000066A0: D3E10084 1612553E
	ds_read_b128 a[84:87], v10 offset:2688                     // 0000000066A8: DBFE0A80 5400000A
	ds_read_b128 a[88:91], v10 offset:4352                     // 0000000066B0: DBFE1100 5800000A
	ds_read_b128 a[92:95], v10 offset:4864                     // 0000000066B8: DBFE1300 5C00000A
	buffer_load_dword v34, v1, s[8:11], 0 idxen offset:128     // 0000000066C0: E0502080 80022201
	buffer_load_dword v35, v2, s[8:11], 0 idxen offset:128     // 0000000066C8: E0502080 80022302
	v_mfma_f32_16x16x16_bf16 v[136:139], v[56:57], a[26:27], 0 // 0000000066D0: D3E10088 12023538
	v_perm_b32 v74, v51, v50, s63                              // 0000000066D8: D1ED004A 00FE6533
	v_perm_b32 v75, v51, v50, s64                              // 0000000066E0: D1ED004B 01026533
	v_perm_b32 v76, v53, v52, s63                              // 0000000066E8: D1ED004C 00FE6935
	v_mov_b32_dpp v131, v128 quad_perm:[3,3,3,3] row_mask:0xf bank_mask:0xf// 0000000066F0: 7F0602FA FF00FF80
	v_mov_b32_dpp v130, v128 quad_perm:[2,2,2,2] row_mask:0xf bank_mask:0xf// 0000000066F8: 7F0402FA FF00AA80
	v_mfma_f32_16x16x16_bf16 v[136:139], v[58:59], a[32:33], v[136:139]// 000000006700: D3E10088 1622413A
	ds_read_b128 v[80:83], v10 offset:13056                    // 000000006708: D9FE3300 5000000A
	ds_read_b128 v[84:87], v10 offset:13568                    // 000000006710: D9FE3500 5400000A
	ds_read_b128 v[88:91], v10 offset:15232                    // 000000006718: D9FE3B80 5800000A
	buffer_load_dword v44, v212, s[20:23], 0 idxen             // 000000006720: E0502000 80052CD4
	buffer_load_dword v45, v213, s[20:23], 0 idxen             // 000000006728: E0502000 80052DD5
	v_mfma_f32_16x16x16_bf16 v[136:139], v[60:61], a[38:39], v[136:139]// 000000006730: D3E10088 16224D3C
	v_perm_b32 v77, v53, v52, s64                              // 000000006738: D1ED004D 01026935
	v_perm_b32 v78, v55, v54, s63                              // 000000006740: D1ED004E 00FE6D37
	v_perm_b32 v79, v55, v54, s64                              // 000000006748: D1ED004F 01026D37
	v_mov_b32_dpp v129, v128 quad_perm:[1,1,1,1] row_mask:0xf bank_mask:0xf// 000000006750: 7F0202FA FF005580
	v_mov_b32_dpp v128, v128 quad_perm:[0,0,0,0] row_mask:0xf bank_mask:0xf// 000000006758: 7F0002FA FF000080
	v_mfma_f32_16x16x16_bf16 v[136:139], v[62:63], a[44:45], v[136:139]// 000000006760: D3E10088 1622593E
	ds_read_b128 v[92:95], v10 offset:15744                    // 000000006768: D9FE3D80 5C00000A
	ds_read_b128 v[96:99], v10 offset:17408                    // 000000006770: D9FE4400 6000000A
	ds_read_b128 v[100:103], v10 offset:17920                  // 000000006778: D9FE4600 6400000A
	buffer_load_dword v46, v212, s[20:23], 0 idxen offset:128  // 000000006780: E0502080 80052ED4
	buffer_load_dword v47, v213, s[20:23], 0 idxen offset:128  // 000000006788: E0502080 80052FD5
	v_mfma_f32_16x16x16_bf16 v[140:143], v[56:57], a[28:29], 0 // 000000006790: D3E1008C 12023938
	s_add_u32 s60, 64, s59                                     // 000000006798: 803C3BC0
	s_cmp_lt_u32 s60, s58                                      // 00000000679C: BF0A3A3C
	s_cselect_b32 s68, s68, 0                                  // 0000000067A0: 85448044
	s_cselect_b32 s97, s97, 0                                  // 0000000067A4: 85618061
	s_cselect_b32 s69, s69, 0                                  // 0000000067A8: 85458045
	v_mfma_f32_16x16x16_bf16 v[140:143], v[58:59], a[34:35], v[140:143]// 0000000067AC: D3E1008C 1632453A
	buffer_load_dword v9, s[24:27], 0 idxen lds                // 0000000067B4: E0512000 80060009
	v_mov_b32_e32 v36, 0                                       // 0000000067BC: 7E480280
	s_mov_b64 exec, s[88:89]                                   // 0000000067C0: BEFE0158
	buffer_load_dword v36, v1, s[8:11], 0 idxen offset:256     // 0000000067C4: E0502100 80022401
	s_mov_b64 exec, s[86:87]                                   // 0000000067CC: BEFE0156
	v_mov_b32_e32 v37, 0                                       // 0000000067D0: 7E4A0280
	s_mov_b64 exec, s[88:89]                                   // 0000000067D4: BEFE0158
	buffer_load_dword v37, v2, s[8:11], 0 idxen offset:256     // 0000000067D8: E0502100 80022502
	s_mov_b64 exec, s[86:87]                                   // 0000000067E0: BEFE0156
	v_mfma_f32_16x16x16_bf16 v[140:143], v[60:61], a[40:41], v[140:143]// 0000000067E4: D3E1008C 1632513C
	v_mov_b32_e32 v48, 0                                       // 0000000067EC: 7E600280
	s_mov_b64 exec, s[88:89]                                   // 0000000067F0: BEFE0158
	buffer_load_dword v48, v212, s[20:23], 0 idxen offset:256  // 0000000067F4: E0502100 800530D4
	s_mov_b64 exec, s[86:87]                                   // 0000000067FC: BEFE0156
	v_mov_b32_e32 v49, 0                                       // 000000006800: 7E620280
	s_mov_b64 exec, s[88:89]                                   // 000000006804: BEFE0158
	buffer_load_dword v49, v213, s[20:23], 0 idxen offset:256  // 000000006808: E0502100 800531D5
	s_mov_b64 exec, s[86:87]                                   // 000000006810: BEFE0156
	v_add_u32_e32 v1, s68, v1                                  // 000000006814: 68020244
	v_add_u32_e32 v2, s68, v2                                  // 000000006818: 68040444
	v_add_u32_e32 v212, s97, v212                              // 00000000681C: 69A9A861
	v_add_u32_e32 v213, s97, v213                              // 000000006820: 69ABAA61
	s_mov_b32 m0, s77                                          // 000000006824: BEFC004D
	v_add_u32_e32 v9, s69, v9                                  // 000000006828: 68121245
	v_mfma_f32_16x16x16_bf16 v[140:143], v[62:63], a[46:47], v[140:143]// 00000000682C: D3E1008C 16325D3E
	s_cmp_ge_u32 s59, 16                                       // 000000006834: BF09903B
	s_cselect_b32 s66, s67, s66                                // 000000006838: 85424243
	s_addk_i32 s59, 0x10                                       // 00000000683C: B73B0010
	s_nop 0                                                    // 000000006840: BF800000
	s_cmp_lt_i32 s59, s58                                      // 000000006844: BF043A3B
	s_cbranch_scc0 label_0A14                                  // 000000006848: BF840001
	s_branch label_05FF                                        // 00000000684C: BF82FBEB

0000000000006850 <label_0A14>:
	s_nop 0                                                    // 000000006850: BF800000
	s_nop 0                                                    // 000000006854: BF800000
	s_branch label_0E2C                                        // 000000006858: BF820415

000000000000685c <label_0A17>:
	s_waitcnt lgkmcnt(0)                                       // 00000000685C: BF8CC07F
	s_barrier                                                  // 000000006860: BF8A0000
	v_mfma_f32_16x16x16_bf16 v[56:59], a[72:73], a[0:1], 0     // 000000006864: D3E10038 1A020148
	v_mul_f32_e32 v132, s47, v132                              // 00000000686C: 0B09082F
	v_mul_f32_e32 v133, s47, v133                              // 000000006870: 0B0B0A2F
	v_mul_f32_e32 v134, s47, v134                              // 000000006874: 0B0D0C2F
	v_mul_f32_e32 v135, s47, v135                              // 000000006878: 0B0F0E2F
	v_mfma_f32_16x16x16_bf16 v[56:59], a[74:75], a[2:3], v[56:59]// 00000000687C: D3E10038 1CE2054A
	ds_write_b32 v11, v50 offset:13056                         // 000000006884: D81A3300 0000320B
	ds_write_b32 v11, v51 offset:14112                         // 00000000688C: D81A3720 0000330B
	ds_write_b32 v11, v52 offset:15232                         // 000000006894: D81A3B80 0000340B
	v_mfma_f32_16x16x16_bf16 v[56:59], a[76:77], a[4:5], v[56:59]// 00000000689C: D3E10038 1CE2094C
	v_mul_f32_e32 v136, s47, v136                              // 0000000068A4: 0B11102F
	v_mul_f32_e32 v137, s47, v137                              // 0000000068A8: 0B13122F
	v_mul_f32_e32 v138, s47, v138                              // 0000000068AC: 0B15142F
	v_mul_f32_e32 v139, s47, v139                              // 0000000068B0: 0B17162F
	v_mfma_f32_16x16x16_bf16 v[56:59], a[78:79], a[6:7], v[56:59]// 0000000068B4: D3E10038 1CE20D4E
	ds_write_b32 v11, v53 offset:16288                         // 0000000068BC: D81A3FA0 0000350B
	ds_write_b32 v11, v54 offset:17408                         // 0000000068C4: D81A4400 0000360B
	ds_write_b32 v11, v55 offset:18464                         // 0000000068CC: D81A4820 0000370B
	v_mfma_f32_16x16x16_bf16 v[56:59], a[80:81], a[8:9], v[56:59]// 0000000068D4: D3E10038 1CE21150
	v_mul_f32_e32 v140, s47, v140                              // 0000000068DC: 0B19182F
	v_mul_f32_e32 v141, s47, v141                              // 0000000068E0: 0B1B1A2F
	v_mul_f32_e32 v142, s47, v142                              // 0000000068E4: 0B1D1C2F
	v_mul_f32_e32 v143, s47, v143                              // 0000000068E8: 0B1F1E2F
	v_mfma_f32_16x16x16_bf16 v[56:59], a[82:83], a[10:11], v[56:59]// 0000000068EC: D3E10038 1CE21552
	ds_write_b64 v20, v[132:133] offset:28416                  // 0000000068F4: D89A6F00 00008414
	ds_write_b64 v20, v[134:135] offset:28928                  // 0000000068FC: D89A7100 00008614
	v_mfma_f32_16x16x16_bf16 v[56:59], a[84:85], a[12:13], v[56:59]// 000000006904: D3E10038 1CE21954
	ds_write_b64 v20, v[136:137] offset:29440                  // 00000000690C: D89A7300 00008814
	ds_write_b64 v20, v[138:139] offset:29952                  // 000000006914: D89A7500 00008A14
	v_mfma_f32_16x16x16_bf16 v[56:59], a[86:87], a[14:15], v[56:59]// 00000000691C: D3E10038 1CE21D56
	ds_write_b64 v20, v[140:141] offset:30464                  // 000000006924: D89A7700 00008C14
	ds_write_b64 v20, v[142:143] offset:30976                  // 00000000692C: D89A7900 00008E14
	v_mfma_f32_16x16x16_bf16 v[56:59], a[88:89], a[16:17], v[56:59]// 000000006934: D3E10038 1CE22158
	ds_read_b128 v[104:107], v12 offset:19584                  // 00000000693C: D9FE4C80 6800000C
	v_mfma_f32_16x16x16_bf16 v[56:59], a[90:91], a[18:19], v[56:59]// 000000006944: D3E10038 1CE2255A
	ds_read_b128 v[108:111], v12 offset:20096                  // 00000000694C: D9FE4E80 6C00000C
	v_mfma_f32_16x16x16_bf16 v[56:59], a[92:93], a[20:21], v[56:59]// 000000006954: D3E10038 1CE2295C
	ds_read_b128 v[112:115], v12 offset:21760                  // 00000000695C: D9FE5500 7000000C
	ds_read_b128 v[116:119], v12 offset:22272                  // 000000006964: D9FE5700 7400000C
	v_mfma_f32_16x16x16_bf16 v[56:59], a[94:95], a[22:23], v[56:59]// 00000000696C: D3E10038 1CE22D5E
	ds_read_b128 v[120:123], v12 offset:23936                  // 000000006974: D9FE5D80 7800000C
	ds_read_b128 v[124:127], v12 offset:24448                  // 00000000697C: D9FE5F80 7C00000C
	s_cmp_lt_i32 s99, 64                                       // 000000006984: BF04C063
	s_cbranch_scc0 label_0A72                                  // 000000006988: BF84000F
	v_and_b32_e32 v28, 15, v0                                  // 00000000698C: 2638008F
	v_mul_i32_i24_e64 v29, s46, 16                             // 000000006990: D106001D 0001202E
	v_add_u32_e32 v28, v28, v29                                // 000000006998: 68383B1C
	v_cmp_lt_u32_e64 s[60:61], v28, s99                        // 00000000699C: D0C9003C 0000C71C
	s_nop 1                                                    // 0000000069A4: BF800001
	v_cndmask_b32_e64 v56, v159, v56, s[60:61]                 // 0000000069A8: D1000038 00F2719F
	v_cndmask_b32_e64 v57, v159, v57, s[60:61]                 // 0000000069B0: D1000039 00F2739F
	v_cndmask_b32_e64 v58, v159, v58, s[60:61]                 // 0000000069B8: D100003A 00F2759F
	v_cndmask_b32_e64 v59, v159, v59, s[60:61]                 // 0000000069C0: D100003B 00F2779F

00000000000069c8 <label_0A72>:
	s_waitcnt lgkmcnt(6)                                       // 0000000069C8: BF8CC67F
	s_barrier                                                  // 0000000069CC: BF8A0000
	v_mfma_f32_16x16x16_bf16 v[64:67], v[80:81], a[48:49], 0   // 0000000069D0: D3E10040 12026150
	v_fma_f32 v56, v56, s57, -v128                             // 0000000069D8: D1CB0038 86007338
	v_fma_f32 v57, v57, s57, -v129                             // 0000000069E0: D1CB0039 86047339
	v_fma_f32 v58, v58, s57, -v130                             // 0000000069E8: D1CB003A 8608733A
	v_fma_f32 v59, v59, s57, -v131                             // 0000000069F0: D1CB003B 860C733B
	v_mfma_f32_16x16x16_bf16 v[64:67], v[82:83], a[50:51], v[64:67]// 0000000069F8: D3E10040 15026552
	ds_read_b128 a[72:75], v12 offset:6528                     // 000000006A00: DBFE1980 4800000C
	ds_read_b128 a[76:79], v12 offset:7040                     // 000000006A08: DBFE1B80 4C00000C
	ds_write_b32 v11, v38                                      // 000000006A10: D81A0000 0000260B
	ds_write_b32 v11, v39 offset:1056                          // 000000006A18: D81A0420 0000270B
	v_mfma_f32_16x16x16_bf16 v[64:67], v[84:85], a[52:53], v[64:67]// 000000006A20: D3E10040 15026954
	v_exp_f32_e32 v56, v56                                     // 000000006A28: 7E704138
	v_mfma_f32_16x16x16_bf16 v[64:67], v[86:87], a[54:55], v[64:67]// 000000006A2C: D3E10040 15026D56
	ds_read_b128 a[80:83], v12 offset:8704                     // 000000006A34: DBFE2200 5000000C
	ds_read_b128 a[84:87], v12 offset:9216                     // 000000006A3C: DBFE2400 5400000C
	ds_write_b32 v11, v40 offset:2176                          // 000000006A44: D81A0880 0000280B
	v_mfma_f32_16x16x16_bf16 v[64:67], v[88:89], a[56:57], v[64:67]// 000000006A4C: D3E10040 15027158
	v_exp_f32_e32 v57, v57                                     // 000000006A54: 7E724139
	v_mfma_f32_16x16x16_bf16 v[64:67], v[90:91], a[58:59], v[64:67]// 000000006A58: D3E10040 1502755A
	ds_read_b128 a[88:91], v12 offset:10880                    // 000000006A60: DBFE2A80 5800000C
	ds_read_b128 a[92:95], v12 offset:11392                    // 000000006A68: DBFE2C80 5C00000C
	ds_write_b32 v11, v41 offset:3232                          // 000000006A70: D81A0CA0 0000290B
	v_mfma_f32_16x16x16_bf16 v[64:67], v[92:93], a[60:61], v[64:67]// 000000006A78: D3E10040 1502795C
	v_exp_f32_e32 v58, v58                                     // 000000006A80: 7E74413A
	v_mfma_f32_16x16x16_bf16 v[64:67], v[94:95], a[62:63], v[64:67]// 000000006A84: D3E10040 15027D5E
	ds_read_b64 v[144:145], v19 offset:28416                   // 000000006A8C: D8EC6F00 90000013
	ds_read_b64 v[146:147], v19 offset:30464                   // 000000006A94: D8EC7700 92000013
	ds_read_b64 v[148:149], v19 offset:32512                   // 000000006A9C: D8EC7F00 94000013
	ds_write_b32 v11, v42 offset:4352                          // 000000006AA4: D81A1100 00002A0B
	v_mfma_f32_16x16x16_bf16 v[64:67], v[96:97], a[64:65], v[64:67]// 000000006AAC: D3E10040 15028160
	v_exp_f32_e32 v59, v59                                     // 000000006AB4: 7E76413B
	v_mfma_f32_16x16x16_bf16 v[64:67], v[98:99], a[66:67], v[64:67]// 000000006AB8: D3E10040 15028562
	ds_read_b64 v[150:151], v19 offset:34560                   // 000000006AC0: D8EC8700 96000013
	ds_read_b64 v[152:153], v19 offset:36608                   // 000000006AC8: D8EC8F00 98000013
	ds_read_b64 v[154:155], v19 offset:38656                   // 000000006AD0: D8EC9700 9A000013
	ds_write_b32 v11, v43 offset:5408                          // 000000006AD8: D81A1520 00002B0B
	v_mfma_f32_16x16x16_bf16 v[64:67], v[100:101], a[68:69], v[64:67]// 000000006AE0: D3E10040 15028964
	v_cmp_u_f32_e64 s[74:75], v56, v56                         // 000000006AE8: D048004A 00027138
	v_bfe_u32 v208, v56, 16, 1                                 // 000000006AF0: D1C800D0 02052138
	v_add3_u32 v208, v56, v208, v211                           // 000000006AF8: D1FF00D0 074FA138
	v_cndmask_b32_e64 v28, v208, v210, s[74:75]                // 000000006B00: D100001C 012BA5D0
	v_lshrrev_b32_e32 v28, 16, v28                             // 000000006B08: 20383890
	v_cmp_u_f32_e64 s[74:75], v57, v57                         // 000000006B0C: D048004A 00027339
	v_bfe_u32 v208, v57, 16, 1                                 // 000000006B14: D1C800D0 02052139
	v_add3_u32 v208, v57, v208, v211                           // 000000006B1C: D1FF00D0 074FA139
	v_cndmask_b32_e64 v29, v208, v210, s[74:75]                // 000000006B24: D100001D 012BA5D0
	v_and_or_b32 v156, v29, v209, v28                          // 000000006B2C: D201009C 0473A31D
	v_mfma_f32_16x16x16_bf16 v[64:67], v[102:103], a[70:71], v[64:67]// 000000006B34: D3E10040 15028D66
	v_cmp_u_f32_e64 s[74:75], v58, v58                         // 000000006B3C: D048004A 0002753A
	v_bfe_u32 v208, v58, 16, 1                                 // 000000006B44: D1C800D0 0205213A
	v_add3_u32 v208, v58, v208, v211                           // 000000006B4C: D1FF00D0 074FA13A
	v_cndmask_b32_e64 v28, v208, v210, s[74:75]                // 000000006B54: D100001C 012BA5D0
	v_lshrrev_b32_e32 v28, 16, v28                             // 000000006B5C: 20383890
	v_cmp_u_f32_e64 s[74:75], v59, v59                         // 000000006B60: D048004A 0002773B
	v_bfe_u32 v208, v59, 16, 1                                 // 000000006B68: D1C800D0 0205213B
	v_add3_u32 v208, v59, v208, v211                           // 000000006B70: D1FF00D0 074FA13B
	v_cndmask_b32_e64 v29, v208, v210, s[74:75]                // 000000006B78: D100001D 012BA5D0
	v_and_or_b32 v157, v29, v209, v28                          // 000000006B80: D201009D 0473A31D
	v_add_u32_e32 v7, s66, v7                                  // 000000006B88: 680E0E42
	v_add_u32_e32 v8, s66, v8                                  // 000000006B8C: 68101042
	s_waitcnt lgkmcnt(0)                                       // 000000006B90: BF8CC07F
	s_barrier                                                  // 000000006B94: BF8A0000
	v_mfma_f32_16x16x16_bf16 v[160:163], v[104:105], v[156:157], v[160:163]// 000000006B98: D3E100A0 06833968
	v_subrev_f32_dpp v64, v158, v64 quad_perm:[0,0,0,0] row_mask:0xf bank_mask:0xf// 000000006BA0: 068080FA FF00009E
	v_subrev_f32_dpp v65, v158, v65 quad_perm:[1,1,1,1] row_mask:0xf bank_mask:0xf// 000000006BA8: 068282FA FF00559E
	buffer_atomic_add_f32 v144, v7, s[32:35], 0 offen          // 000000006BB0: E1341000 80089007
	v_mfma_f32_16x16x16_bf16 v[164:167], v[106:107], v[156:157], v[164:167]// 000000006BB8: D3E100A4 0693396A
	v_subrev_f32_dpp v66, v158, v66 quad_perm:[2,2,2,2] row_mask:0xf bank_mask:0xf// 000000006BC0: 068484FA FF00AA9E
	v_subrev_f32_dpp v67, v158, v67 quad_perm:[3,3,3,3] row_mask:0xf bank_mask:0xf// 000000006BC8: 068686FA FF00FF9E
	buffer_atomic_add_f32 v145, v8, s[32:35], 0 offen          // 000000006BD0: E1341000 80089108
	v_mfma_f32_16x16x16_bf16 v[168:171], v[108:109], v[156:157], v[168:171]// 000000006BD8: D3E100A8 06A3396C
	v_mul_f32_e32 v64, v56, v64                                // 000000006BE0: 0A808138
	v_mul_f32_e32 v65, v57, v65                                // 000000006BE4: 0A828339
	buffer_atomic_add_f32 v146, v7, s[32:35], 0 offen offset:128// 000000006BE8: E1341080 80089207
	v_mfma_f32_16x16x16_bf16 v[172:175], v[110:111], v[156:157], v[172:175]// 000000006BF0: D3E100AC 06B3396E
	v_mul_f32_e32 v66, v58, v66                                // 000000006BF8: 0A84853A
	v_mul_f32_e32 v67, v59, v67                                // 000000006BFC: 0A86873B
	buffer_atomic_add_f32 v147, v8, s[32:35], 0 offen offset:128// 000000006C00: E1341080 80089308
	v_mfma_f32_16x16x16_bf16 v[176:179], v[112:113], v[156:157], v[176:179]// 000000006C08: D3E100B0 06C33970
	v_cmp_u_f32_e64 s[74:75], v64, v64                         // 000000006C10: D048004A 00028140
	v_bfe_u32 v208, v64, 16, 1                                 // 000000006C18: D1C800D0 02052140
	v_add3_u32 v208, v64, v208, v211                           // 000000006C20: D1FF00D0 074FA140
	v_cndmask_b32_e64 v28, v208, v210, s[74:75]                // 000000006C28: D100001C 012BA5D0
	v_lshrrev_b32_e32 v28, 16, v28                             // 000000006C30: 20383890
	v_cmp_u_f32_e64 s[74:75], v65, v65                         // 000000006C34: D048004A 00028341
	v_bfe_u32 v208, v65, 16, 1                                 // 000000006C3C: D1C800D0 02052141
	v_add3_u32 v208, v65, v208, v211                           // 000000006C44: D1FF00D0 074FA141
	v_cndmask_b32_e64 v29, v208, v210, s[74:75]                // 000000006C4C: D100001D 012BA5D0
	v_and_or_b32 v64, v29, v209, v28                           // 000000006C54: D2010040 0473A31D
	v_mfma_f32_16x16x16_bf16 v[180:183], v[114:115], v[156:157], v[180:183]// 000000006C5C: D3E100B4 06D33972
	v_cmp_u_f32_e64 s[74:75], v66, v66                         // 000000006C64: D048004A 00028542
	v_bfe_u32 v208, v66, 16, 1                                 // 000000006C6C: D1C800D0 02052142
	v_add3_u32 v208, v66, v208, v211                           // 000000006C74: D1FF00D0 074FA142
	v_cndmask_b32_e64 v28, v208, v210, s[74:75]                // 000000006C7C: D100001C 012BA5D0
	v_lshrrev_b32_e32 v28, 16, v28                             // 000000006C84: 20383890
	v_cmp_u_f32_e64 s[74:75], v67, v67                         // 000000006C88: D048004A 00028743
	v_bfe_u32 v208, v67, 16, 1                                 // 000000006C90: D1C800D0 02052143
	v_add3_u32 v208, v67, v208, v211                           // 000000006C98: D1FF00D0 074FA143
	v_cndmask_b32_e64 v29, v208, v210, s[74:75]                // 000000006CA0: D100001D 012BA5D0
	v_and_or_b32 v65, v29, v209, v28                           // 000000006CA8: D2010041 0473A31D
	v_mfma_f32_16x16x16_bf16 v[184:187], v[116:117], v[156:157], v[184:187]// 000000006CB0: D3E100B8 06E33974
	v_mov_b32_dpp v16, v64 quad_perm:[1,0,3,2] row_mask:0xf bank_mask:0xf// 000000006CB8: 7E2002FA FF00B140
	v_perm_b32 v56, v16, v64, v15                              // 000000006CC0: D1ED0038 043E8110
	buffer_atomic_add_f32 v148, v7, s[32:35], 0 offen offset:256// 000000006CC8: E1341100 80089407
	v_mfma_f32_16x16x16_bf16 v[188:191], v[118:119], v[156:157], v[188:191]// 000000006CD0: D3E100BC 06F33976
	v_mov_b32_dpp v16, v65 quad_perm:[1,0,3,2] row_mask:0xf bank_mask:0xf// 000000006CD8: 7E2002FA FF00B141
	v_perm_b32 v57, v16, v65, v15                              // 000000006CE0: D1ED0039 043E8310
	buffer_atomic_add_f32 v149, v8, s[32:35], 0 offen offset:256// 000000006CE8: E1341100 80089508
	v_mfma_f32_16x16x16_bf16 v[192:195], v[120:121], v[156:157], v[192:195]// 000000006CF0: D3E100C0 07033978
	ds_write_b32 v13, v68 offset:6528                          // 000000006CF8: D81A1980 0000440D
	ds_write_b32 v13, v69 offset:7584                          // 000000006D00: D81A1DA0 0000450D
	v_mfma_f32_16x16x16_bf16 v[196:199], v[122:123], v[156:157], v[196:199]// 000000006D08: D3E100C4 0713397A
	ds_write_b32 v18, v56 offset:26112                         // 000000006D10: D81A6600 00003812
	ds_write_b32 v18, v57 offset:26656                         // 000000006D18: D81A6820 00003912
	v_mfma_f32_16x16x16_bf16 v[200:203], v[124:125], v[156:157], v[200:203]// 000000006D20: D3E100C8 0723397C
	ds_write_b32 v13, v70 offset:8704                          // 000000006D28: D81A2200 0000460D
	ds_write_b32 v13, v71 offset:9760                          // 000000006D30: D81A2620 0000470D
	v_mfma_f32_16x16x16_bf16 v[204:207], v[126:127], v[156:157], v[204:207]// 000000006D38: D3E100CC 0733397E
	ds_write_b32 v13, v72 offset:10880                         // 000000006D40: D81A2A80 0000480D
	ds_write_b32 v13, v73 offset:11936                         // 000000006D48: D81A2EA0 0000490D
	s_barrier                                                  // 000000006D50: BF8A0000
	v_mfma_f32_16x16x16_bf16 a[96:99], a[72:73], v[64:65], a[96:99]// 000000006D54: D3E18060 0D828148
	ds_read_b32 v128, v21 offset:41216                         // 000000006D5C: D86CA100 80000015
	ds_read_b32 v158, v21 offset:41472                         // 000000006D64: D86CA200 9E000015
	v_mfma_f32_16x16x16_bf16 a[100:103], a[74:75], v[64:65], a[100:103]// 000000006D6C: D3E18064 0D92814A
	buffer_atomic_add_f32 v150, v7, s[32:35], 0 offen offset:384// 000000006D74: E1341180 80089607
	buffer_atomic_add_f32 v151, v8, s[32:35], 0 offen offset:384// 000000006D7C: E1341180 80089708
	v_mfma_f32_16x16x16_bf16 a[104:107], a[76:77], v[64:65], a[104:107]// 000000006D84: D3E18068 0DA2814C
	s_waitcnt lgkmcnt(6)                                       // 000000006D8C: BF8CC67F
	s_barrier                                                  // 000000006D90: BF8A0000
	v_mfma_f32_16x16x16_bf16 a[108:111], a[78:79], v[64:65], a[108:111]// 000000006D94: D3E1806C 0DB2814E
	s_mov_b64 exec, s[92:93]                                   // 000000006D9C: BEFE015C
	buffer_atomic_add_f32 v152, v7, s[32:35], 0 offen offset:512// 000000006DA0: E1341200 80089807
	s_mov_b64 exec, s[86:87]                                   // 000000006DA8: BEFE0156
	v_mfma_f32_16x16x16_bf16 a[112:115], a[80:81], v[64:65], a[112:115]// 000000006DAC: D3E18070 0DC28150
	ds_read_b128 v[56:59], v17 offset:26112                    // 000000006DB4: D9FE6600 38000011
	v_mfma_f32_16x16x16_bf16 a[116:119], a[82:83], v[64:65], a[116:119]// 000000006DBC: D3E18074 0DD28152
	s_mov_b64 exec, s[92:93]                                   // 000000006DC4: BEFE015C
	buffer_atomic_add_f32 v153, v8, s[32:35], 0 offen offset:512// 000000006DC8: E1341200 80089908
	s_mov_b64 exec, s[86:87]                                   // 000000006DD0: BEFE0156
	v_mfma_f32_16x16x16_bf16 a[120:123], a[84:85], v[64:65], a[120:123]// 000000006DD4: D3E18078 0DE28154
	ds_read_b128 v[60:63], v17 offset:27264                    // 000000006DDC: D9FE6A80 3C000011
	v_mfma_f32_16x16x16_bf16 a[124:127], a[86:87], v[64:65], a[124:127]// 000000006DE4: D3E1807C 0DF28156
	s_mov_b64 exec, s[94:95]                                   // 000000006DEC: BEFE015E
	buffer_atomic_add_f32 v154, v7, s[32:35], 0 offen offset:640// 000000006DF0: E1341280 80089A07
	s_mov_b64 exec, s[86:87]                                   // 000000006DF8: BEFE0156
	v_mfma_f32_16x16x16_bf16 a[128:131], a[88:89], v[64:65], a[128:131]// 000000006DFC: D3E18080 0E028158
	ds_write_b32 v13, v74 offset:19584                         // 000000006E04: D81A4C80 00004A0D
	ds_write_b32 v13, v75 offset:20640                         // 000000006E0C: D81A50A0 00004B0D
	v_mfma_f32_16x16x16_bf16 a[132:135], a[90:91], v[64:65], a[132:135]// 000000006E14: D3E18084 0E12815A
	s_mov_b64 exec, s[94:95]                                   // 000000006E1C: BEFE015E
	buffer_atomic_add_f32 v155, v8, s[32:35], 0 offen offset:640// 000000006E20: E1341280 80089B08
	s_mov_b64 exec, s[86:87]                                   // 000000006E28: BEFE0156
	v_mfma_f32_16x16x16_bf16 a[136:139], a[92:93], v[64:65], a[136:139]// 000000006E2C: D3E18088 0E22815C
	ds_write_b32 v13, v76 offset:21760                         // 000000006E34: D81A5500 00004C0D
	ds_write_b32 v13, v77 offset:22816                         // 000000006E3C: D81A5920 00004D0D
	v_mfma_f32_16x16x16_bf16 a[140:143], a[94:95], v[64:65], a[140:143]// 000000006E44: D3E1808C 0E32815E
	ds_write_b32 v13, v78 offset:23936                         // 000000006E4C: D81A5D80 00004E0D
	ds_write_b32 v13, v79 offset:24992                         // 000000006E54: D81A61A0 00004F0D
	s_waitcnt vmcnt(12) lgkmcnt(6)                             // 000000006E5C: BF8C067C
	s_barrier                                                  // 000000006E60: BF8A0000
	v_mfma_f32_16x16x16_bf16 v[132:135], v[56:57], a[24:25], 0 // 000000006E64: D3E10084 12023138
	ds_read_b128 a[72:75], v10                                 // 000000006E6C: DBFE0000 4800000A
	ds_read_b128 a[76:79], v10 offset:512                      // 000000006E74: DBFE0200 4C00000A
	ds_read_b128 a[80:83], v10 offset:2176                     // 000000006E7C: DBFE0880 5000000A
	buffer_load_dword v38, v1, s[8:11], 0 idxen                // 000000006E84: E0502000 80022601
	buffer_load_dword v39, v2, s[8:11], 0 idxen                // 000000006E8C: E0502000 80022702
	v_mfma_f32_16x16x16_bf16 v[132:135], v[58:59], a[30:31], v[132:135]// 000000006E94: D3E10084 16123D3A
	v_mul_f32_e32 v128, s48, v128                              // 000000006E9C: 0B010030
	v_perm_b32 v68, v33, v32, s63                              // 000000006EA0: D1ED0044 00FE4121
	v_perm_b32 v69, v33, v32, s64                              // 000000006EA8: D1ED0045 01024121
	v_perm_b32 v70, v35, v34, s63                              // 000000006EB0: D1ED0046 00FE4523
	v_mfma_f32_16x16x16_bf16 v[132:135], v[60:61], a[36:37], v[132:135]// 000000006EB8: D3E10084 1612493C
	ds_read_b128 a[84:87], v10 offset:2688                     // 000000006EC0: DBFE0A80 5400000A
	ds_read_b128 a[88:91], v10 offset:4352                     // 000000006EC8: DBFE1100 5800000A
	ds_read_b128 a[92:95], v10 offset:4864                     // 000000006ED0: DBFE1300 5C00000A
	buffer_load_dword v40, v1, s[8:11], 0 idxen offset:128     // 000000006ED8: E0502080 80022801
	buffer_load_dword v41, v2, s[8:11], 0 idxen offset:128     // 000000006EE0: E0502080 80022902
	v_mfma_f32_16x16x16_bf16 v[132:135], v[62:63], a[42:43], v[132:135]// 000000006EE8: D3E10084 1612553E
	v_perm_b32 v71, v35, v34, s64                              // 000000006EF0: D1ED0047 01024523
	v_perm_b32 v72, v37, v36, s63                              // 000000006EF8: D1ED0048 00FE4925
	v_perm_b32 v73, v37, v36, s64                              // 000000006F00: D1ED0049 01024925
	v_mfma_f32_16x16x16_bf16 v[136:139], v[56:57], a[26:27], 0 // 000000006F08: D3E10088 12023538
	ds_read_b128 v[80:83], v10 offset:13056                    // 000000006F10: D9FE3300 5000000A
	ds_read_b128 v[84:87], v10 offset:13568                    // 000000006F18: D9FE3500 5400000A
	ds_read_b128 v[88:91], v10 offset:15232                    // 000000006F20: D9FE3B80 5800000A
	buffer_load_dword v50, v212, s[20:23], 0 idxen             // 000000006F28: E0502000 800532D4
	buffer_load_dword v51, v213, s[20:23], 0 idxen             // 000000006F30: E0502000 800533D5
	v_mfma_f32_16x16x16_bf16 v[136:139], v[58:59], a[32:33], v[136:139]// 000000006F38: D3E10088 1622413A
	v_perm_b32 v74, v45, v44, s63                              // 000000006F40: D1ED004A 00FE592D
	v_perm_b32 v75, v45, v44, s64                              // 000000006F48: D1ED004B 0102592D
	v_perm_b32 v76, v47, v46, s63                              // 000000006F50: D1ED004C 00FE5D2F
	v_mov_b32_dpp v131, v128 quad_perm:[3,3,3,3] row_mask:0xf bank_mask:0xf// 000000006F58: 7F0602FA FF00FF80
	v_mov_b32_dpp v130, v128 quad_perm:[2,2,2,2] row_mask:0xf bank_mask:0xf// 000000006F60: 7F0402FA FF00AA80
	v_mfma_f32_16x16x16_bf16 v[136:139], v[60:61], a[38:39], v[136:139]// 000000006F68: D3E10088 16224D3C
	ds_read_b128 v[92:95], v10 offset:15744                    // 000000006F70: D9FE3D80 5C00000A
	ds_read_b128 v[96:99], v10 offset:17408                    // 000000006F78: D9FE4400 6000000A
	ds_read_b128 v[100:103], v10 offset:17920                  // 000000006F80: D9FE4600 6400000A
	buffer_load_dword v52, v212, s[20:23], 0 idxen offset:128  // 000000006F88: E0502080 800534D4
	buffer_load_dword v53, v213, s[20:23], 0 idxen offset:128  // 000000006F90: E0502080 800535D5
	v_mfma_f32_16x16x16_bf16 v[136:139], v[62:63], a[44:45], v[136:139]// 000000006F98: D3E10088 1622593E
	v_perm_b32 v77, v47, v46, s64                              // 000000006FA0: D1ED004D 01025D2F
	v_perm_b32 v78, v49, v48, s63                              // 000000006FA8: D1ED004E 00FE6131
	v_perm_b32 v79, v49, v48, s64                              // 000000006FB0: D1ED004F 01026131
	v_mov_b32_dpp v129, v128 quad_perm:[1,1,1,1] row_mask:0xf bank_mask:0xf// 000000006FB8: 7F0202FA FF005580
	v_mov_b32_dpp v128, v128 quad_perm:[0,0,0,0] row_mask:0xf bank_mask:0xf// 000000006FC0: 7F0002FA FF000080
	v_mfma_f32_16x16x16_bf16 v[140:143], v[56:57], a[28:29], 0 // 000000006FC8: D3E1008C 12023938
	buffer_load_dword v9, s[24:27], 0 idxen lds                // 000000006FD0: E0512000 80060009
	v_mov_b32_e32 v42, 0                                       // 000000006FD8: 7E540280
	s_mov_b64 exec, s[88:89]                                   // 000000006FDC: BEFE0158
	buffer_load_dword v42, v1, s[8:11], 0 idxen offset:256     // 000000006FE0: E0502100 80022A01
	s_mov_b64 exec, s[86:87]                                   // 000000006FE8: BEFE0156
	v_mov_b32_e32 v43, 0                                       // 000000006FEC: 7E560280
	s_mov_b64 exec, s[88:89]                                   // 000000006FF0: BEFE0158
	buffer_load_dword v43, v2, s[8:11], 0 idxen offset:256     // 000000006FF4: E0502100 80022B02
	s_mov_b64 exec, s[86:87]                                   // 000000006FFC: BEFE0156
	v_mfma_f32_16x16x16_bf16 v[140:143], v[58:59], a[34:35], v[140:143]// 000000007000: D3E1008C 1632453A
	s_add_u32 s60, 64, s59                                     // 000000007008: 803C3BC0
	s_cmp_lt_u32 s60, s58                                      // 00000000700C: BF0A3A3C
	s_cselect_b32 s68, s68, 0                                  // 000000007010: 85448044
	s_cselect_b32 s97, s97, 0                                  // 000000007014: 85618061
	;; [unrolled: 1-line block ×3, first 2 shown]
	v_mfma_f32_16x16x16_bf16 v[140:143], v[60:61], a[40:41], v[140:143]// 00000000701C: D3E1008C 1632513C
	v_mov_b32_e32 v54, 0                                       // 000000007024: 7E6C0280
	s_mov_b64 exec, s[88:89]                                   // 000000007028: BEFE0158
	buffer_load_dword v54, v212, s[20:23], 0 idxen offset:256  // 00000000702C: E0502100 800536D4
	s_mov_b64 exec, s[86:87]                                   // 000000007034: BEFE0156
	v_mov_b32_e32 v55, 0                                       // 000000007038: 7E6E0280
	s_mov_b64 exec, s[88:89]                                   // 00000000703C: BEFE0158
	buffer_load_dword v55, v213, s[20:23], 0 idxen offset:256  // 000000007040: E0502100 800537D5
	s_mov_b64 exec, s[86:87]                                   // 000000007048: BEFE0156
	v_add_u32_e32 v1, s68, v1                                  // 00000000704C: 68020244
	v_add_u32_e32 v2, s68, v2                                  // 000000007050: 68040444
	v_add_u32_e32 v212, s97, v212                              // 000000007054: 69A9A861
	v_add_u32_e32 v213, s97, v213                              // 000000007058: 69ABAA61
	s_mov_b32 m0, s76                                          // 00000000705C: BEFC004C
	v_add_u32_e32 v9, s69, v9                                  // 000000007060: 68121245
	v_mfma_f32_16x16x16_bf16 v[140:143], v[62:63], a[46:47], v[140:143]// 000000007064: D3E1008C 16325D3E
	s_cmp_ge_u32 s59, 16                                       // 00000000706C: BF09903B
	s_cselect_b32 s66, s67, s66                                // 000000007070: 85424243
	s_addk_i32 s59, 0x10                                       // 000000007074: B73B0010
	s_nop 0                                                    // 000000007078: BF800000
	s_cmp_lt_i32 s59, s58                                      // 00000000707C: BF043A3B
	s_cbranch_scc0 label_0A14                                  // 000000007080: BF84FDF3
	s_waitcnt lgkmcnt(0)                                       // 000000007084: BF8CC07F
	s_barrier                                                  // 000000007088: BF8A0000
	v_mfma_f32_16x16x16_bf16 v[56:59], a[72:73], a[0:1], 0     // 00000000708C: D3E10038 1A020148
	v_mul_f32_e32 v132, s47, v132                              // 000000007094: 0B09082F
	v_mul_f32_e32 v133, s47, v133                              // 000000007098: 0B0B0A2F
	v_mul_f32_e32 v134, s47, v134                              // 00000000709C: 0B0D0C2F
	v_mul_f32_e32 v135, s47, v135                              // 0000000070A0: 0B0F0E2F
	v_mfma_f32_16x16x16_bf16 v[56:59], a[74:75], a[2:3], v[56:59]// 0000000070A4: D3E10038 1CE2054A
	ds_write_b32 v11, v44 offset:13056                         // 0000000070AC: D81A3300 00002C0B
	ds_write_b32 v11, v45 offset:14112                         // 0000000070B4: D81A3720 00002D0B
	ds_write_b32 v11, v46 offset:15232                         // 0000000070BC: D81A3B80 00002E0B
	v_mfma_f32_16x16x16_bf16 v[56:59], a[76:77], a[4:5], v[56:59]// 0000000070C4: D3E10038 1CE2094C
	v_mul_f32_e32 v136, s47, v136                              // 0000000070CC: 0B11102F
	v_mul_f32_e32 v137, s47, v137                              // 0000000070D0: 0B13122F
	v_mul_f32_e32 v138, s47, v138                              // 0000000070D4: 0B15142F
	v_mul_f32_e32 v139, s47, v139                              // 0000000070D8: 0B17162F
	v_mfma_f32_16x16x16_bf16 v[56:59], a[78:79], a[6:7], v[56:59]// 0000000070DC: D3E10038 1CE20D4E
	ds_write_b32 v11, v47 offset:16288                         // 0000000070E4: D81A3FA0 00002F0B
	ds_write_b32 v11, v48 offset:17408                         // 0000000070EC: D81A4400 0000300B
	ds_write_b32 v11, v49 offset:18464                         // 0000000070F4: D81A4820 0000310B
	v_mfma_f32_16x16x16_bf16 v[56:59], a[80:81], a[8:9], v[56:59]// 0000000070FC: D3E10038 1CE21150
	v_mul_f32_e32 v140, s47, v140                              // 000000007104: 0B19182F
	v_mul_f32_e32 v141, s47, v141                              // 000000007108: 0B1B1A2F
	v_mul_f32_e32 v142, s47, v142                              // 00000000710C: 0B1D1C2F
	v_mul_f32_e32 v143, s47, v143                              // 000000007110: 0B1F1E2F
	v_mfma_f32_16x16x16_bf16 v[56:59], a[82:83], a[10:11], v[56:59]// 000000007114: D3E10038 1CE21552
	ds_write_b64 v20, v[132:133] offset:28416                  // 00000000711C: D89A6F00 00008414
	ds_write_b64 v20, v[134:135] offset:28928                  // 000000007124: D89A7100 00008614
	v_mfma_f32_16x16x16_bf16 v[56:59], a[84:85], a[12:13], v[56:59]// 00000000712C: D3E10038 1CE21954
	ds_write_b64 v20, v[136:137] offset:29440                  // 000000007134: D89A7300 00008814
	ds_write_b64 v20, v[138:139] offset:29952                  // 00000000713C: D89A7500 00008A14
	v_mfma_f32_16x16x16_bf16 v[56:59], a[86:87], a[14:15], v[56:59]// 000000007144: D3E10038 1CE21D56
	ds_write_b64 v20, v[140:141] offset:30464                  // 00000000714C: D89A7700 00008C14
	ds_write_b64 v20, v[142:143] offset:30976                  // 000000007154: D89A7900 00008E14
	v_mfma_f32_16x16x16_bf16 v[56:59], a[88:89], a[16:17], v[56:59]// 00000000715C: D3E10038 1CE22158
	ds_read_b128 v[104:107], v12 offset:19584                  // 000000007164: D9FE4C80 6800000C
	v_mfma_f32_16x16x16_bf16 v[56:59], a[90:91], a[18:19], v[56:59]// 00000000716C: D3E10038 1CE2255A
	ds_read_b128 v[108:111], v12 offset:20096                  // 000000007174: D9FE4E80 6C00000C
	v_mfma_f32_16x16x16_bf16 v[56:59], a[92:93], a[20:21], v[56:59]// 00000000717C: D3E10038 1CE2295C
	ds_read_b128 v[112:115], v12 offset:21760                  // 000000007184: D9FE5500 7000000C
	ds_read_b128 v[116:119], v12 offset:22272                  // 00000000718C: D9FE5700 7400000C
	v_mfma_f32_16x16x16_bf16 v[56:59], a[94:95], a[22:23], v[56:59]// 000000007194: D3E10038 1CE22D5E
	ds_read_b128 v[120:123], v12 offset:23936                  // 00000000719C: D9FE5D80 7800000C
	ds_read_b128 v[124:127], v12 offset:24448                  // 0000000071A4: D9FE5F80 7C00000C
	s_cmp_lt_i32 s99, 64                                       // 0000000071AC: BF04C063
	s_cbranch_scc0 label_0C7C                                  // 0000000071B0: BF84000F
	v_and_b32_e32 v28, 15, v0                                  // 0000000071B4: 2638008F
	v_mul_i32_i24_e64 v29, s46, 16                             // 0000000071B8: D106001D 0001202E
	v_add_u32_e32 v28, v28, v29                                // 0000000071C0: 68383B1C
	v_cmp_lt_u32_e64 s[60:61], v28, s99                        // 0000000071C4: D0C9003C 0000C71C
	s_nop 1                                                    // 0000000071CC: BF800001
	v_cndmask_b32_e64 v56, v159, v56, s[60:61]                 // 0000000071D0: D1000038 00F2719F
	v_cndmask_b32_e64 v57, v159, v57, s[60:61]                 // 0000000071D8: D1000039 00F2739F
	v_cndmask_b32_e64 v58, v159, v58, s[60:61]                 // 0000000071E0: D100003A 00F2759F
	v_cndmask_b32_e64 v59, v159, v59, s[60:61]                 // 0000000071E8: D100003B 00F2779F

00000000000071f0 <label_0C7C>:
	s_waitcnt lgkmcnt(6)                                       // 0000000071F0: BF8CC67F
	s_barrier                                                  // 0000000071F4: BF8A0000
	v_mfma_f32_16x16x16_bf16 v[64:67], v[80:81], a[48:49], 0   // 0000000071F8: D3E10040 12026150
	v_fma_f32 v56, v56, s57, -v128                             // 000000007200: D1CB0038 86007338
	v_fma_f32 v57, v57, s57, -v129                             // 000000007208: D1CB0039 86047339
	v_fma_f32 v58, v58, s57, -v130                             // 000000007210: D1CB003A 8608733A
	v_fma_f32 v59, v59, s57, -v131                             // 000000007218: D1CB003B 860C733B
	v_mfma_f32_16x16x16_bf16 v[64:67], v[82:83], a[50:51], v[64:67]// 000000007220: D3E10040 15026552
	ds_read_b128 a[72:75], v12 offset:6528                     // 000000007228: DBFE1980 4800000C
	ds_read_b128 a[76:79], v12 offset:7040                     // 000000007230: DBFE1B80 4C00000C
	ds_write_b32 v11, v32                                      // 000000007238: D81A0000 0000200B
	ds_write_b32 v11, v33 offset:1056                          // 000000007240: D81A0420 0000210B
	v_mfma_f32_16x16x16_bf16 v[64:67], v[84:85], a[52:53], v[64:67]// 000000007248: D3E10040 15026954
	v_exp_f32_e32 v56, v56                                     // 000000007250: 7E704138
	v_mfma_f32_16x16x16_bf16 v[64:67], v[86:87], a[54:55], v[64:67]// 000000007254: D3E10040 15026D56
	ds_read_b128 a[80:83], v12 offset:8704                     // 00000000725C: DBFE2200 5000000C
	ds_read_b128 a[84:87], v12 offset:9216                     // 000000007264: DBFE2400 5400000C
	ds_write_b32 v11, v34 offset:2176                          // 00000000726C: D81A0880 0000220B
	v_mfma_f32_16x16x16_bf16 v[64:67], v[88:89], a[56:57], v[64:67]// 000000007274: D3E10040 15027158
	v_exp_f32_e32 v57, v57                                     // 00000000727C: 7E724139
	v_mfma_f32_16x16x16_bf16 v[64:67], v[90:91], a[58:59], v[64:67]// 000000007280: D3E10040 1502755A
	ds_read_b128 a[88:91], v12 offset:10880                    // 000000007288: DBFE2A80 5800000C
	ds_read_b128 a[92:95], v12 offset:11392                    // 000000007290: DBFE2C80 5C00000C
	ds_write_b32 v11, v35 offset:3232                          // 000000007298: D81A0CA0 0000230B
	v_mfma_f32_16x16x16_bf16 v[64:67], v[92:93], a[60:61], v[64:67]// 0000000072A0: D3E10040 1502795C
	v_exp_f32_e32 v58, v58                                     // 0000000072A8: 7E74413A
	v_mfma_f32_16x16x16_bf16 v[64:67], v[94:95], a[62:63], v[64:67]// 0000000072AC: D3E10040 15027D5E
	ds_read_b64 v[144:145], v19 offset:28416                   // 0000000072B4: D8EC6F00 90000013
	ds_read_b64 v[146:147], v19 offset:30464                   // 0000000072BC: D8EC7700 92000013
	ds_read_b64 v[148:149], v19 offset:32512                   // 0000000072C4: D8EC7F00 94000013
	ds_write_b32 v11, v36 offset:4352                          // 0000000072CC: D81A1100 0000240B
	v_mfma_f32_16x16x16_bf16 v[64:67], v[96:97], a[64:65], v[64:67]// 0000000072D4: D3E10040 15028160
	v_exp_f32_e32 v59, v59                                     // 0000000072DC: 7E76413B
	v_mfma_f32_16x16x16_bf16 v[64:67], v[98:99], a[66:67], v[64:67]// 0000000072E0: D3E10040 15028562
	ds_read_b64 v[150:151], v19 offset:34560                   // 0000000072E8: D8EC8700 96000013
	ds_read_b64 v[152:153], v19 offset:36608                   // 0000000072F0: D8EC8F00 98000013
	ds_read_b64 v[154:155], v19 offset:38656                   // 0000000072F8: D8EC9700 9A000013
	ds_write_b32 v11, v37 offset:5408                          // 000000007300: D81A1520 0000250B
	v_mfma_f32_16x16x16_bf16 v[64:67], v[100:101], a[68:69], v[64:67]// 000000007308: D3E10040 15028964
	v_cmp_u_f32_e64 s[74:75], v56, v56                         // 000000007310: D048004A 00027138
	v_bfe_u32 v208, v56, 16, 1                                 // 000000007318: D1C800D0 02052138
	v_add3_u32 v208, v56, v208, v211                           // 000000007320: D1FF00D0 074FA138
	v_cndmask_b32_e64 v28, v208, v210, s[74:75]                // 000000007328: D100001C 012BA5D0
	v_lshrrev_b32_e32 v28, 16, v28                             // 000000007330: 20383890
	v_cmp_u_f32_e64 s[74:75], v57, v57                         // 000000007334: D048004A 00027339
	v_bfe_u32 v208, v57, 16, 1                                 // 00000000733C: D1C800D0 02052139
	v_add3_u32 v208, v57, v208, v211                           // 000000007344: D1FF00D0 074FA139
	v_cndmask_b32_e64 v29, v208, v210, s[74:75]                // 00000000734C: D100001D 012BA5D0
	v_and_or_b32 v156, v29, v209, v28                          // 000000007354: D201009C 0473A31D
	v_mfma_f32_16x16x16_bf16 v[64:67], v[102:103], a[70:71], v[64:67]// 00000000735C: D3E10040 15028D66
	v_cmp_u_f32_e64 s[74:75], v58, v58                         // 000000007364: D048004A 0002753A
	v_bfe_u32 v208, v58, 16, 1                                 // 00000000736C: D1C800D0 0205213A
	v_add3_u32 v208, v58, v208, v211                           // 000000007374: D1FF00D0 074FA13A
	v_cndmask_b32_e64 v28, v208, v210, s[74:75]                // 00000000737C: D100001C 012BA5D0
	v_lshrrev_b32_e32 v28, 16, v28                             // 000000007384: 20383890
	v_cmp_u_f32_e64 s[74:75], v59, v59                         // 000000007388: D048004A 0002773B
	v_bfe_u32 v208, v59, 16, 1                                 // 000000007390: D1C800D0 0205213B
	v_add3_u32 v208, v59, v208, v211                           // 000000007398: D1FF00D0 074FA13B
	v_cndmask_b32_e64 v29, v208, v210, s[74:75]                // 0000000073A0: D100001D 012BA5D0
	v_and_or_b32 v157, v29, v209, v28                          // 0000000073A8: D201009D 0473A31D
	v_add_u32_e32 v7, s66, v7                                  // 0000000073B0: 680E0E42
	v_add_u32_e32 v8, s66, v8                                  // 0000000073B4: 68101042
	s_waitcnt lgkmcnt(0)                                       // 0000000073B8: BF8CC07F
	s_barrier                                                  // 0000000073BC: BF8A0000
	v_mfma_f32_16x16x16_bf16 v[160:163], v[104:105], v[156:157], v[160:163]// 0000000073C0: D3E100A0 06833968
	v_subrev_f32_dpp v64, v158, v64 quad_perm:[0,0,0,0] row_mask:0xf bank_mask:0xf// 0000000073C8: 068080FA FF00009E
	v_subrev_f32_dpp v65, v158, v65 quad_perm:[1,1,1,1] row_mask:0xf bank_mask:0xf// 0000000073D0: 068282FA FF00559E
	buffer_atomic_add_f32 v144, v7, s[32:35], 0 offen          // 0000000073D8: E1341000 80089007
	v_mfma_f32_16x16x16_bf16 v[164:167], v[106:107], v[156:157], v[164:167]// 0000000073E0: D3E100A4 0693396A
	v_subrev_f32_dpp v66, v158, v66 quad_perm:[2,2,2,2] row_mask:0xf bank_mask:0xf// 0000000073E8: 068484FA FF00AA9E
	v_subrev_f32_dpp v67, v158, v67 quad_perm:[3,3,3,3] row_mask:0xf bank_mask:0xf// 0000000073F0: 068686FA FF00FF9E
	buffer_atomic_add_f32 v145, v8, s[32:35], 0 offen          // 0000000073F8: E1341000 80089108
	v_mfma_f32_16x16x16_bf16 v[168:171], v[108:109], v[156:157], v[168:171]// 000000007400: D3E100A8 06A3396C
	v_mul_f32_e32 v64, v56, v64                                // 000000007408: 0A808138
	v_mul_f32_e32 v65, v57, v65                                // 00000000740C: 0A828339
	buffer_atomic_add_f32 v146, v7, s[32:35], 0 offen offset:128// 000000007410: E1341080 80089207
	v_mfma_f32_16x16x16_bf16 v[172:175], v[110:111], v[156:157], v[172:175]// 000000007418: D3E100AC 06B3396E
	v_mul_f32_e32 v66, v58, v66                                // 000000007420: 0A84853A
	v_mul_f32_e32 v67, v59, v67                                // 000000007424: 0A86873B
	buffer_atomic_add_f32 v147, v8, s[32:35], 0 offen offset:128// 000000007428: E1341080 80089308
	v_mfma_f32_16x16x16_bf16 v[176:179], v[112:113], v[156:157], v[176:179]// 000000007430: D3E100B0 06C33970
	v_cmp_u_f32_e64 s[74:75], v64, v64                         // 000000007438: D048004A 00028140
	v_bfe_u32 v208, v64, 16, 1                                 // 000000007440: D1C800D0 02052140
	v_add3_u32 v208, v64, v208, v211                           // 000000007448: D1FF00D0 074FA140
	v_cndmask_b32_e64 v28, v208, v210, s[74:75]                // 000000007450: D100001C 012BA5D0
	v_lshrrev_b32_e32 v28, 16, v28                             // 000000007458: 20383890
	v_cmp_u_f32_e64 s[74:75], v65, v65                         // 00000000745C: D048004A 00028341
	v_bfe_u32 v208, v65, 16, 1                                 // 000000007464: D1C800D0 02052141
	v_add3_u32 v208, v65, v208, v211                           // 00000000746C: D1FF00D0 074FA141
	v_cndmask_b32_e64 v29, v208, v210, s[74:75]                // 000000007474: D100001D 012BA5D0
	v_and_or_b32 v64, v29, v209, v28                           // 00000000747C: D2010040 0473A31D
	v_mfma_f32_16x16x16_bf16 v[180:183], v[114:115], v[156:157], v[180:183]// 000000007484: D3E100B4 06D33972
	v_cmp_u_f32_e64 s[74:75], v66, v66                         // 00000000748C: D048004A 00028542
	v_bfe_u32 v208, v66, 16, 1                                 // 000000007494: D1C800D0 02052142
	v_add3_u32 v208, v66, v208, v211                           // 00000000749C: D1FF00D0 074FA142
	v_cndmask_b32_e64 v28, v208, v210, s[74:75]                // 0000000074A4: D100001C 012BA5D0
	v_lshrrev_b32_e32 v28, 16, v28                             // 0000000074AC: 20383890
	v_cmp_u_f32_e64 s[74:75], v67, v67                         // 0000000074B0: D048004A 00028743
	v_bfe_u32 v208, v67, 16, 1                                 // 0000000074B8: D1C800D0 02052143
	v_add3_u32 v208, v67, v208, v211                           // 0000000074C0: D1FF00D0 074FA143
	v_cndmask_b32_e64 v29, v208, v210, s[74:75]                // 0000000074C8: D100001D 012BA5D0
	v_and_or_b32 v65, v29, v209, v28                           // 0000000074D0: D2010041 0473A31D
	v_mfma_f32_16x16x16_bf16 v[184:187], v[116:117], v[156:157], v[184:187]// 0000000074D8: D3E100B8 06E33974
	v_mov_b32_dpp v16, v64 quad_perm:[1,0,3,2] row_mask:0xf bank_mask:0xf// 0000000074E0: 7E2002FA FF00B140
	v_perm_b32 v56, v16, v64, v15                              // 0000000074E8: D1ED0038 043E8110
	buffer_atomic_add_f32 v148, v7, s[32:35], 0 offen offset:256// 0000000074F0: E1341100 80089407
	v_mfma_f32_16x16x16_bf16 v[188:191], v[118:119], v[156:157], v[188:191]// 0000000074F8: D3E100BC 06F33976
	v_mov_b32_dpp v16, v65 quad_perm:[1,0,3,2] row_mask:0xf bank_mask:0xf// 000000007500: 7E2002FA FF00B141
	v_perm_b32 v57, v16, v65, v15                              // 000000007508: D1ED0039 043E8310
	buffer_atomic_add_f32 v149, v8, s[32:35], 0 offen offset:256// 000000007510: E1341100 80089508
	v_mfma_f32_16x16x16_bf16 v[192:195], v[120:121], v[156:157], v[192:195]// 000000007518: D3E100C0 07033978
	ds_write_b32 v13, v68 offset:6528                          // 000000007520: D81A1980 0000440D
	ds_write_b32 v13, v69 offset:7584                          // 000000007528: D81A1DA0 0000450D
	v_mfma_f32_16x16x16_bf16 v[196:199], v[122:123], v[156:157], v[196:199]// 000000007530: D3E100C4 0713397A
	ds_write_b32 v18, v56 offset:26112                         // 000000007538: D81A6600 00003812
	ds_write_b32 v18, v57 offset:26656                         // 000000007540: D81A6820 00003912
	v_mfma_f32_16x16x16_bf16 v[200:203], v[124:125], v[156:157], v[200:203]// 000000007548: D3E100C8 0723397C
	ds_write_b32 v13, v70 offset:8704                          // 000000007550: D81A2200 0000460D
	ds_write_b32 v13, v71 offset:9760                          // 000000007558: D81A2620 0000470D
	v_mfma_f32_16x16x16_bf16 v[204:207], v[126:127], v[156:157], v[204:207]// 000000007560: D3E100CC 0733397E
	ds_write_b32 v13, v72 offset:10880                         // 000000007568: D81A2A80 0000480D
	ds_write_b32 v13, v73 offset:11936                         // 000000007570: D81A2EA0 0000490D
	s_barrier                                                  // 000000007578: BF8A0000
	v_mfma_f32_16x16x16_bf16 a[96:99], a[72:73], v[64:65], a[96:99]// 00000000757C: D3E18060 0D828148
	ds_read_b32 v128, v21 offset:40704                         // 000000007584: D86C9F00 80000015
	ds_read_b32 v158, v21 offset:40960                         // 00000000758C: D86CA000 9E000015
	v_mfma_f32_16x16x16_bf16 a[100:103], a[74:75], v[64:65], a[100:103]// 000000007594: D3E18064 0D92814A
	buffer_atomic_add_f32 v150, v7, s[32:35], 0 offen offset:384// 00000000759C: E1341180 80089607
	buffer_atomic_add_f32 v151, v8, s[32:35], 0 offen offset:384// 0000000075A4: E1341180 80089708
	v_mfma_f32_16x16x16_bf16 a[104:107], a[76:77], v[64:65], a[104:107]// 0000000075AC: D3E18068 0DA2814C
	s_waitcnt lgkmcnt(6)                                       // 0000000075B4: BF8CC67F
	s_barrier                                                  // 0000000075B8: BF8A0000
	v_mfma_f32_16x16x16_bf16 a[108:111], a[78:79], v[64:65], a[108:111]// 0000000075BC: D3E1806C 0DB2814E
	s_mov_b64 exec, s[92:93]                                   // 0000000075C4: BEFE015C
	buffer_atomic_add_f32 v152, v7, s[32:35], 0 offen offset:512// 0000000075C8: E1341200 80089807
	s_mov_b64 exec, s[86:87]                                   // 0000000075D0: BEFE0156
	v_mfma_f32_16x16x16_bf16 a[112:115], a[80:81], v[64:65], a[112:115]// 0000000075D4: D3E18070 0DC28150
	ds_read_b128 v[56:59], v17 offset:26112                    // 0000000075DC: D9FE6600 38000011
	v_mfma_f32_16x16x16_bf16 a[116:119], a[82:83], v[64:65], a[116:119]// 0000000075E4: D3E18074 0DD28152
	s_mov_b64 exec, s[92:93]                                   // 0000000075EC: BEFE015C
	buffer_atomic_add_f32 v153, v8, s[32:35], 0 offen offset:512// 0000000075F0: E1341200 80089908
	s_mov_b64 exec, s[86:87]                                   // 0000000075F8: BEFE0156
	v_mfma_f32_16x16x16_bf16 a[120:123], a[84:85], v[64:65], a[120:123]// 0000000075FC: D3E18078 0DE28154
	ds_read_b128 v[60:63], v17 offset:27264                    // 000000007604: D9FE6A80 3C000011
	v_mfma_f32_16x16x16_bf16 a[124:127], a[86:87], v[64:65], a[124:127]// 00000000760C: D3E1807C 0DF28156
	s_mov_b64 exec, s[94:95]                                   // 000000007614: BEFE015E
	buffer_atomic_add_f32 v154, v7, s[32:35], 0 offen offset:640// 000000007618: E1341280 80089A07
	s_mov_b64 exec, s[86:87]                                   // 000000007620: BEFE0156
	v_mfma_f32_16x16x16_bf16 a[128:131], a[88:89], v[64:65], a[128:131]// 000000007624: D3E18080 0E028158
	ds_write_b32 v13, v74 offset:19584                         // 00000000762C: D81A4C80 00004A0D
	ds_write_b32 v13, v75 offset:20640                         // 000000007634: D81A50A0 00004B0D
	v_mfma_f32_16x16x16_bf16 a[132:135], a[90:91], v[64:65], a[132:135]// 00000000763C: D3E18084 0E12815A
	s_mov_b64 exec, s[94:95]                                   // 000000007644: BEFE015E
	buffer_atomic_add_f32 v155, v8, s[32:35], 0 offen offset:640// 000000007648: E1341280 80089B08
	s_mov_b64 exec, s[86:87]                                   // 000000007650: BEFE0156
	v_mfma_f32_16x16x16_bf16 a[136:139], a[92:93], v[64:65], a[136:139]// 000000007654: D3E18088 0E22815C
	ds_write_b32 v13, v76 offset:21760                         // 00000000765C: D81A5500 00004C0D
	ds_write_b32 v13, v77 offset:22816                         // 000000007664: D81A5920 00004D0D
	v_mfma_f32_16x16x16_bf16 a[140:143], a[94:95], v[64:65], a[140:143]// 00000000766C: D3E1808C 0E32815E
	ds_write_b32 v13, v78 offset:23936                         // 000000007674: D81A5D80 00004E0D
	ds_write_b32 v13, v79 offset:24992                         // 00000000767C: D81A61A0 00004F0D
	s_waitcnt vmcnt(12) lgkmcnt(6)                             // 000000007684: BF8C067C
	s_barrier                                                  // 000000007688: BF8A0000
	v_mfma_f32_16x16x16_bf16 v[132:135], v[56:57], a[24:25], 0 // 00000000768C: D3E10084 12023138
	ds_read_b128 a[72:75], v10                                 // 000000007694: DBFE0000 4800000A
	ds_read_b128 a[76:79], v10 offset:512                      // 00000000769C: DBFE0200 4C00000A
	ds_read_b128 a[80:83], v10 offset:2176                     // 0000000076A4: DBFE0880 5000000A
	buffer_load_dword v32, v1, s[8:11], 0 idxen                // 0000000076AC: E0502000 80022001
	buffer_load_dword v33, v2, s[8:11], 0 idxen                // 0000000076B4: E0502000 80022102
	v_mfma_f32_16x16x16_bf16 v[132:135], v[58:59], a[30:31], v[132:135]// 0000000076BC: D3E10084 16123D3A
	v_mul_f32_e32 v128, s48, v128                              // 0000000076C4: 0B010030
	v_perm_b32 v68, v39, v38, s63                              // 0000000076C8: D1ED0044 00FE4D27
	v_perm_b32 v69, v39, v38, s64                              // 0000000076D0: D1ED0045 01024D27
	v_perm_b32 v70, v41, v40, s63                              // 0000000076D8: D1ED0046 00FE5129
	v_mfma_f32_16x16x16_bf16 v[132:135], v[60:61], a[36:37], v[132:135]// 0000000076E0: D3E10084 1612493C
	ds_read_b128 a[84:87], v10 offset:2688                     // 0000000076E8: DBFE0A80 5400000A
	ds_read_b128 a[88:91], v10 offset:4352                     // 0000000076F0: DBFE1100 5800000A
	ds_read_b128 a[92:95], v10 offset:4864                     // 0000000076F8: DBFE1300 5C00000A
	buffer_load_dword v34, v1, s[8:11], 0 idxen offset:128     // 000000007700: E0502080 80022201
	buffer_load_dword v35, v2, s[8:11], 0 idxen offset:128     // 000000007708: E0502080 80022302
	v_mfma_f32_16x16x16_bf16 v[132:135], v[62:63], a[42:43], v[132:135]// 000000007710: D3E10084 1612553E
	v_perm_b32 v71, v41, v40, s64                              // 000000007718: D1ED0047 01025129
	v_perm_b32 v72, v43, v42, s63                              // 000000007720: D1ED0048 00FE552B
	v_perm_b32 v73, v43, v42, s64                              // 000000007728: D1ED0049 0102552B
	v_mfma_f32_16x16x16_bf16 v[136:139], v[56:57], a[26:27], 0 // 000000007730: D3E10088 12023538
	ds_read_b128 v[80:83], v10 offset:13056                    // 000000007738: D9FE3300 5000000A
	ds_read_b128 v[84:87], v10 offset:13568                    // 000000007740: D9FE3500 5400000A
	ds_read_b128 v[88:91], v10 offset:15232                    // 000000007748: D9FE3B80 5800000A
	buffer_load_dword v44, v212, s[20:23], 0 idxen             // 000000007750: E0502000 80052CD4
	buffer_load_dword v45, v213, s[20:23], 0 idxen             // 000000007758: E0502000 80052DD5
	v_mfma_f32_16x16x16_bf16 v[136:139], v[58:59], a[32:33], v[136:139]// 000000007760: D3E10088 1622413A
	v_perm_b32 v74, v51, v50, s63                              // 000000007768: D1ED004A 00FE6533
	v_perm_b32 v75, v51, v50, s64                              // 000000007770: D1ED004B 01026533
	v_perm_b32 v76, v53, v52, s63                              // 000000007778: D1ED004C 00FE6935
	v_mov_b32_dpp v131, v128 quad_perm:[3,3,3,3] row_mask:0xf bank_mask:0xf// 000000007780: 7F0602FA FF00FF80
	v_mov_b32_dpp v130, v128 quad_perm:[2,2,2,2] row_mask:0xf bank_mask:0xf// 000000007788: 7F0402FA FF00AA80
	v_mfma_f32_16x16x16_bf16 v[136:139], v[60:61], a[38:39], v[136:139]// 000000007790: D3E10088 16224D3C
	ds_read_b128 v[92:95], v10 offset:15744                    // 000000007798: D9FE3D80 5C00000A
	ds_read_b128 v[96:99], v10 offset:17408                    // 0000000077A0: D9FE4400 6000000A
	ds_read_b128 v[100:103], v10 offset:17920                  // 0000000077A8: D9FE4600 6400000A
	buffer_load_dword v46, v212, s[20:23], 0 idxen offset:128  // 0000000077B0: E0502080 80052ED4
	buffer_load_dword v47, v213, s[20:23], 0 idxen offset:128  // 0000000077B8: E0502080 80052FD5
	v_mfma_f32_16x16x16_bf16 v[136:139], v[62:63], a[44:45], v[136:139]// 0000000077C0: D3E10088 1622593E
	v_perm_b32 v77, v53, v52, s64                              // 0000000077C8: D1ED004D 01026935
	v_perm_b32 v78, v55, v54, s63                              // 0000000077D0: D1ED004E 00FE6D37
	v_perm_b32 v79, v55, v54, s64                              // 0000000077D8: D1ED004F 01026D37
	v_mov_b32_dpp v129, v128 quad_perm:[1,1,1,1] row_mask:0xf bank_mask:0xf// 0000000077E0: 7F0202FA FF005580
	v_mov_b32_dpp v128, v128 quad_perm:[0,0,0,0] row_mask:0xf bank_mask:0xf// 0000000077E8: 7F0002FA FF000080
	v_mfma_f32_16x16x16_bf16 v[140:143], v[56:57], a[28:29], 0 // 0000000077F0: D3E1008C 12023938
	buffer_load_dword v9, s[24:27], 0 idxen lds                // 0000000077F8: E0512000 80060009
	v_mov_b32_e32 v36, 0                                       // 000000007800: 7E480280
	s_mov_b64 exec, s[88:89]                                   // 000000007804: BEFE0158
	buffer_load_dword v36, v1, s[8:11], 0 idxen offset:256     // 000000007808: E0502100 80022401
	s_mov_b64 exec, s[86:87]                                   // 000000007810: BEFE0156
	v_mov_b32_e32 v37, 0                                       // 000000007814: 7E4A0280
	s_mov_b64 exec, s[88:89]                                   // 000000007818: BEFE0158
	buffer_load_dword v37, v2, s[8:11], 0 idxen offset:256     // 00000000781C: E0502100 80022502
	s_mov_b64 exec, s[86:87]                                   // 000000007824: BEFE0156
	v_mfma_f32_16x16x16_bf16 v[140:143], v[58:59], a[34:35], v[140:143]// 000000007828: D3E1008C 1632453A
	s_add_u32 s60, 64, s59                                     // 000000007830: 803C3BC0
	s_cmp_lt_u32 s60, s58                                      // 000000007834: BF0A3A3C
	s_cselect_b32 s68, s68, 0                                  // 000000007838: 85448044
	s_cselect_b32 s97, s97, 0                                  // 00000000783C: 85618061
	s_cselect_b32 s69, s69, 0                                  // 000000007840: 85458045
	v_mfma_f32_16x16x16_bf16 v[140:143], v[60:61], a[40:41], v[140:143]// 000000007844: D3E1008C 1632513C
	v_mov_b32_e32 v48, 0                                       // 00000000784C: 7E600280
	s_mov_b64 exec, s[88:89]                                   // 000000007850: BEFE0158
	buffer_load_dword v48, v212, s[20:23], 0 idxen offset:256  // 000000007854: E0502100 800530D4
	s_mov_b64 exec, s[86:87]                                   // 00000000785C: BEFE0156
	v_mov_b32_e32 v49, 0                                       // 000000007860: 7E620280
	s_mov_b64 exec, s[88:89]                                   // 000000007864: BEFE0158
	buffer_load_dword v49, v213, s[20:23], 0 idxen offset:256  // 000000007868: E0502100 800531D5
	s_mov_b64 exec, s[86:87]                                   // 000000007870: BEFE0156
	v_add_u32_e32 v1, s68, v1                                  // 000000007874: 68020244
	v_add_u32_e32 v2, s68, v2                                  // 000000007878: 68040444
	v_add_u32_e32 v212, s97, v212                              // 00000000787C: 69A9A861
	v_add_u32_e32 v213, s97, v213                              // 000000007880: 69ABAA61
	s_mov_b32 m0, s77                                          // 000000007884: BEFC004D
	v_add_u32_e32 v9, s69, v9                                  // 000000007888: 68121245
	v_mfma_f32_16x16x16_bf16 v[140:143], v[62:63], a[46:47], v[140:143]// 00000000788C: D3E1008C 16325D3E
	s_cmp_ge_u32 s59, 16                                       // 000000007894: BF09903B
	s_cselect_b32 s66, s67, s66                                // 000000007898: 85424243
	s_addk_i32 s59, 0x10                                       // 00000000789C: B73B0010
	s_nop 0                                                    // 0000000078A0: BF800000
	s_cmp_lt_i32 s59, s58                                      // 0000000078A4: BF043A3B
	s_cbranch_scc0 label_0A14                                  // 0000000078A8: BF84FBE9
	s_branch label_0A17                                        // 0000000078AC: BF82FBEB

00000000000078b0 <label_0E2C>:
	v_add_u32_e32 v7, s66, v7                                  // 0000000078B0: 680E0E42
	v_add_u32_e32 v8, s66, v8                                  // 0000000078B4: 68101042
	v_lshrrev_b32_e32 v28, 5, v0                               // 0000000078B8: 20380085
	v_mul_i32_i24_e32 v25, 0x44, v28                           // 0000000078BC: 0C3238FF 00000044
	v_and_b32_e32 v28, 31, v0                                  // 0000000078C4: 2638009F
	v_mul_i32_i24_e32 v29, 2, v28                              // 0000000078C8: 0C3A3882
	v_add_u32_e32 v25, v29, v25                                // 0000000078CC: 6832331D
	s_mul_i32 s60, s46, 0x660                                  // 0000000078D0: 923CFF2E 00000660
	v_add_u32_e32 v25, s60, v25                                // 0000000078D8: 6832323C
	v_lshlrev_b32_e32 v25, 2, v25                              // 0000000078DC: 24323282
	v_mul_f32_e32 v132, s47, v132                              // 0000000078E0: 0B09082F
	v_mul_f32_e32 v133, s47, v133                              // 0000000078E4: 0B0B0A2F
	v_mul_f32_e32 v134, s47, v134                              // 0000000078E8: 0B0D0C2F
	v_mul_f32_e32 v135, s47, v135                              // 0000000078EC: 0B0F0E2F
	v_mul_f32_e32 v136, s47, v136                              // 0000000078F0: 0B11102F
	v_mul_f32_e32 v137, s47, v137                              // 0000000078F4: 0B13122F
	v_mul_f32_e32 v138, s47, v138                              // 0000000078F8: 0B15142F
	v_mul_f32_e32 v139, s47, v139                              // 0000000078FC: 0B17162F
	v_mul_f32_e32 v140, s47, v140                              // 000000007900: 0B19182F
	v_mul_f32_e32 v141, s47, v141                              // 000000007904: 0B1B1A2F
	v_mul_f32_e32 v142, s47, v142                              // 000000007908: 0B1D1C2F
	v_mul_f32_e32 v143, s47, v143                              // 00000000790C: 0B1F1E2F
	ds_write_b64 v20, v[132:133] offset:28416                  // 000000007910: D89A6F00 00008414
	ds_write_b64 v20, v[134:135] offset:28928                  // 000000007918: D89A7100 00008614
	ds_write_b64 v20, v[136:137] offset:29440                  // 000000007920: D89A7300 00008814
	ds_write_b64 v20, v[138:139] offset:29952                  // 000000007928: D89A7500 00008A14
	ds_write_b64 v20, v[140:141] offset:30464                  // 000000007930: D89A7700 00008C14
	ds_write_b64 v20, v[142:143] offset:30976                  // 000000007938: D89A7900 00008E14
	s_waitcnt lgkmcnt(0)                                       // 000000007940: BF8CC07F
	s_barrier                                                  // 000000007944: BF8A0000
	ds_read_b64 v[144:145], v19 offset:28416                   // 000000007948: D8EC6F00 90000013
	ds_read_b64 v[146:147], v19 offset:30464                   // 000000007950: D8EC7700 92000013
	ds_read_b64 v[148:149], v19 offset:32512                   // 000000007958: D8EC7F00 94000013
	ds_read_b64 v[150:151], v19 offset:34560                   // 000000007960: D8EC8700 96000013
	ds_read_b64 v[152:153], v19 offset:36608                   // 000000007968: D8EC8F00 98000013
	ds_read_b64 v[154:155], v19 offset:38656                   // 000000007970: D8EC9700 9A000013
	s_waitcnt lgkmcnt(0)                                       // 000000007978: BF8CC07F
	s_barrier                                                  // 00000000797C: BF8A0000
	buffer_atomic_add_f32 v144, v7, s[32:35], 0 offen          // 000000007980: E1341000 80089007
	buffer_atomic_add_f32 v145, v8, s[32:35], 0 offen          // 000000007988: E1341000 80089108
	buffer_atomic_add_f32 v146, v7, s[32:35], 0 offen offset:128// 000000007990: E1341080 80089207
	buffer_atomic_add_f32 v147, v8, s[32:35], 0 offen offset:128// 000000007998: E1341080 80089308
	buffer_atomic_add_f32 v148, v7, s[32:35], 0 offen offset:256// 0000000079A0: E1341100 80089407
	buffer_atomic_add_f32 v149, v8, s[32:35], 0 offen offset:256// 0000000079A8: E1341100 80089508
	buffer_atomic_add_f32 v150, v7, s[32:35], 0 offen offset:384// 0000000079B0: E1341180 80089607
	buffer_atomic_add_f32 v151, v8, s[32:35], 0 offen offset:384// 0000000079B8: E1341180 80089708
	s_mov_b64 exec, s[92:93]                                   // 0000000079C0: BEFE015C
	buffer_atomic_add_f32 v152, v7, s[32:35], 0 offen offset:512// 0000000079C4: E1341200 80089807
	s_mov_b64 exec, s[86:87]                                   // 0000000079CC: BEFE0156
	s_mov_b64 exec, s[92:93]                                   // 0000000079D0: BEFE015C
	buffer_atomic_add_f32 v153, v8, s[32:35], 0 offen offset:512// 0000000079D4: E1341200 80089908
	s_mov_b64 exec, s[86:87]                                   // 0000000079DC: BEFE0156
	s_mov_b64 exec, s[94:95]                                   // 0000000079E0: BEFE015E
	buffer_atomic_add_f32 v154, v7, s[32:35], 0 offen offset:640// 0000000079E4: E1341280 80089A07
	s_mov_b64 exec, s[86:87]                                   // 0000000079EC: BEFE0156
	s_mov_b64 exec, s[94:95]                                   // 0000000079F0: BEFE015E
	buffer_atomic_add_f32 v155, v8, s[32:35], 0 offen offset:640// 0000000079F4: E1341280 80089B08
	s_mov_b64 exec, s[86:87]                                   // 0000000079FC: BEFE0156
	v_lshrrev_b32_e32 v28, 3, v0                               // 000000007A00: 20380083
	v_mul_i32_i24_e32 v24, 2, v28                              // 000000007A04: 0C303882
	v_and_b32_e32 v28, 7, v0                                   // 000000007A08: 26380087
	v_mul_i32_i24_e32 v29, 0x44, v28                           // 000000007A0C: 0C3A38FF 00000044
	v_add_u32_e32 v24, v29, v24                                // 000000007A14: 6830311D
	s_mul_i32 s60, s46, 0x660                                  // 000000007A18: 923CFF2E 00000660
	v_add_u32_e32 v24, s60, v24                                // 000000007A20: 6830303C
	v_lshlrev_b32_e32 v24, 2, v24                              // 000000007A24: 24303082
	v_accvgpr_read_b32 v30, a96                                // 000000007A28: D3D8401E 18000160
	v_accvgpr_read_b32 v31, a97                                // 000000007A30: D3D8401F 18000161
	v_mul_f32_e32 v30, s47, v30                                // 000000007A38: 0A3C3C2F
	v_mul_f32_e32 v31, s47, v31                                // 000000007A3C: 0A3E3E2F
	v_cmp_u_f32_e64 s[74:75], v30, v30                         // 000000007A40: D048004A 00023D1E
	v_bfe_u32 v208, v30, 16, 1                                 // 000000007A48: D1C800D0 0205211E
	v_add3_u32 v208, v30, v208, v211                           // 000000007A50: D1FF00D0 074FA11E
	v_cndmask_b32_e64 v28, v208, v210, s[74:75]                // 000000007A58: D100001C 012BA5D0
	v_lshrrev_b32_e32 v28, 16, v28                             // 000000007A60: 20383890
	v_cmp_u_f32_e64 s[74:75], v31, v31                         // 000000007A64: D048004A 00023F1F
	v_bfe_u32 v208, v31, 16, 1                                 // 000000007A6C: D1C800D0 0205211F
	v_add3_u32 v208, v31, v208, v211                           // 000000007A74: D1FF00D0 074FA11F
	v_cndmask_b32_e64 v29, v208, v210, s[74:75]                // 000000007A7C: D100001D 012BA5D0
	v_and_or_b32 v56, v29, v209, v28                           // 000000007A84: D2010038 0473A31D
	v_accvgpr_read_b32 v30, a98                                // 000000007A8C: D3D8401E 18000162
	v_accvgpr_read_b32 v31, a99                                // 000000007A94: D3D8401F 18000163
	v_mul_f32_e32 v30, s47, v30                                // 000000007A9C: 0A3C3C2F
	v_mul_f32_e32 v31, s47, v31                                // 000000007AA0: 0A3E3E2F
	v_cmp_u_f32_e64 s[74:75], v30, v30                         // 000000007AA4: D048004A 00023D1E
	v_bfe_u32 v208, v30, 16, 1                                 // 000000007AAC: D1C800D0 0205211E
	v_add3_u32 v208, v30, v208, v211                           // 000000007AB4: D1FF00D0 074FA11E
	v_cndmask_b32_e64 v28, v208, v210, s[74:75]                // 000000007ABC: D100001C 012BA5D0
	v_lshrrev_b32_e32 v28, 16, v28                             // 000000007AC4: 20383890
	v_cmp_u_f32_e64 s[74:75], v31, v31                         // 000000007AC8: D048004A 00023F1F
	v_bfe_u32 v208, v31, 16, 1                                 // 000000007AD0: D1C800D0 0205211F
	v_add3_u32 v208, v31, v208, v211                           // 000000007AD8: D1FF00D0 074FA11F
	v_cndmask_b32_e64 v29, v208, v210, s[74:75]                // 000000007AE0: D100001D 012BA5D0
	v_and_or_b32 v57, v29, v209, v28                           // 000000007AE8: D2010039 0473A31D
	v_accvgpr_read_b32 v30, a100                               // 000000007AF0: D3D8401E 18000164
	v_accvgpr_read_b32 v31, a101                               // 000000007AF8: D3D8401F 18000165
	v_mul_f32_e32 v30, s47, v30                                // 000000007B00: 0A3C3C2F
	v_mul_f32_e32 v31, s47, v31                                // 000000007B04: 0A3E3E2F
	v_cmp_u_f32_e64 s[74:75], v30, v30                         // 000000007B08: D048004A 00023D1E
	v_bfe_u32 v208, v30, 16, 1                                 // 000000007B10: D1C800D0 0205211E
	v_add3_u32 v208, v30, v208, v211                           // 000000007B18: D1FF00D0 074FA11E
	v_cndmask_b32_e64 v28, v208, v210, s[74:75]                // 000000007B20: D100001C 012BA5D0
	v_lshrrev_b32_e32 v28, 16, v28                             // 000000007B28: 20383890
	v_cmp_u_f32_e64 s[74:75], v31, v31                         // 000000007B2C: D048004A 00023F1F
	v_bfe_u32 v208, v31, 16, 1                                 // 000000007B34: D1C800D0 0205211F
	v_add3_u32 v208, v31, v208, v211                           // 000000007B3C: D1FF00D0 074FA11F
	v_cndmask_b32_e64 v29, v208, v210, s[74:75]                // 000000007B44: D100001D 012BA5D0
	v_and_or_b32 v58, v29, v209, v28                           // 000000007B4C: D201003A 0473A31D
	v_accvgpr_read_b32 v30, a102                               // 000000007B54: D3D8401E 18000166
	v_accvgpr_read_b32 v31, a103                               // 000000007B5C: D3D8401F 18000167
	v_mul_f32_e32 v30, s47, v30                                // 000000007B64: 0A3C3C2F
	v_mul_f32_e32 v31, s47, v31                                // 000000007B68: 0A3E3E2F
	v_cmp_u_f32_e64 s[74:75], v30, v30                         // 000000007B6C: D048004A 00023D1E
	v_bfe_u32 v208, v30, 16, 1                                 // 000000007B74: D1C800D0 0205211E
	v_add3_u32 v208, v30, v208, v211                           // 000000007B7C: D1FF00D0 074FA11E
	v_cndmask_b32_e64 v28, v208, v210, s[74:75]                // 000000007B84: D100001C 012BA5D0
	v_lshrrev_b32_e32 v28, 16, v28                             // 000000007B8C: 20383890
	v_cmp_u_f32_e64 s[74:75], v31, v31                         // 000000007B90: D048004A 00023F1F
	v_bfe_u32 v208, v31, 16, 1                                 // 000000007B98: D1C800D0 0205211F
	v_add3_u32 v208, v31, v208, v211                           // 000000007BA0: D1FF00D0 074FA11F
	v_cndmask_b32_e64 v29, v208, v210, s[74:75]                // 000000007BA8: D100001D 012BA5D0
	v_and_or_b32 v59, v29, v209, v28                           // 000000007BB0: D201003B 0473A31D
	v_accvgpr_read_b32 v30, a104                               // 000000007BB8: D3D8401E 18000168
	v_accvgpr_read_b32 v31, a105                               // 000000007BC0: D3D8401F 18000169
	v_mul_f32_e32 v30, s47, v30                                // 000000007BC8: 0A3C3C2F
	v_mul_f32_e32 v31, s47, v31                                // 000000007BCC: 0A3E3E2F
	v_cmp_u_f32_e64 s[74:75], v30, v30                         // 000000007BD0: D048004A 00023D1E
	v_bfe_u32 v208, v30, 16, 1                                 // 000000007BD8: D1C800D0 0205211E
	v_add3_u32 v208, v30, v208, v211                           // 000000007BE0: D1FF00D0 074FA11E
	v_cndmask_b32_e64 v28, v208, v210, s[74:75]                // 000000007BE8: D100001C 012BA5D0
	v_lshrrev_b32_e32 v28, 16, v28                             // 000000007BF0: 20383890
	v_cmp_u_f32_e64 s[74:75], v31, v31                         // 000000007BF4: D048004A 00023F1F
	v_bfe_u32 v208, v31, 16, 1                                 // 000000007BFC: D1C800D0 0205211F
	v_add3_u32 v208, v31, v208, v211                           // 000000007C04: D1FF00D0 074FA11F
	v_cndmask_b32_e64 v29, v208, v210, s[74:75]                // 000000007C0C: D100001D 012BA5D0
	v_and_or_b32 v60, v29, v209, v28                           // 000000007C14: D201003C 0473A31D
	v_accvgpr_read_b32 v30, a106                               // 000000007C1C: D3D8401E 1800016A
	v_accvgpr_read_b32 v31, a107                               // 000000007C24: D3D8401F 1800016B
	v_mul_f32_e32 v30, s47, v30                                // 000000007C2C: 0A3C3C2F
	v_mul_f32_e32 v31, s47, v31                                // 000000007C30: 0A3E3E2F
	v_cmp_u_f32_e64 s[74:75], v30, v30                         // 000000007C34: D048004A 00023D1E
	v_bfe_u32 v208, v30, 16, 1                                 // 000000007C3C: D1C800D0 0205211E
	v_add3_u32 v208, v30, v208, v211                           // 000000007C44: D1FF00D0 074FA11E
	v_cndmask_b32_e64 v28, v208, v210, s[74:75]                // 000000007C4C: D100001C 012BA5D0
	v_lshrrev_b32_e32 v28, 16, v28                             // 000000007C54: 20383890
	v_cmp_u_f32_e64 s[74:75], v31, v31                         // 000000007C58: D048004A 00023F1F
	v_bfe_u32 v208, v31, 16, 1                                 // 000000007C60: D1C800D0 0205211F
	v_add3_u32 v208, v31, v208, v211                           // 000000007C68: D1FF00D0 074FA11F
	v_cndmask_b32_e64 v29, v208, v210, s[74:75]                // 000000007C70: D100001D 012BA5D0
	v_and_or_b32 v61, v29, v209, v28                           // 000000007C78: D201003D 0473A31D
	v_accvgpr_read_b32 v30, a108                               // 000000007C80: D3D8401E 1800016C
	v_accvgpr_read_b32 v31, a109                               // 000000007C88: D3D8401F 1800016D
	v_mul_f32_e32 v30, s47, v30                                // 000000007C90: 0A3C3C2F
	v_mul_f32_e32 v31, s47, v31                                // 000000007C94: 0A3E3E2F
	v_cmp_u_f32_e64 s[74:75], v30, v30                         // 000000007C98: D048004A 00023D1E
	v_bfe_u32 v208, v30, 16, 1                                 // 000000007CA0: D1C800D0 0205211E
	v_add3_u32 v208, v30, v208, v211                           // 000000007CA8: D1FF00D0 074FA11E
	v_cndmask_b32_e64 v28, v208, v210, s[74:75]                // 000000007CB0: D100001C 012BA5D0
	v_lshrrev_b32_e32 v28, 16, v28                             // 000000007CB8: 20383890
	v_cmp_u_f32_e64 s[74:75], v31, v31                         // 000000007CBC: D048004A 00023F1F
	v_bfe_u32 v208, v31, 16, 1                                 // 000000007CC4: D1C800D0 0205211F
	v_add3_u32 v208, v31, v208, v211                           // 000000007CCC: D1FF00D0 074FA11F
	v_cndmask_b32_e64 v29, v208, v210, s[74:75]                // 000000007CD4: D100001D 012BA5D0
	v_and_or_b32 v62, v29, v209, v28                           // 000000007CDC: D201003E 0473A31D
	v_accvgpr_read_b32 v30, a110                               // 000000007CE4: D3D8401E 1800016E
	v_accvgpr_read_b32 v31, a111                               // 000000007CEC: D3D8401F 1800016F
	v_mul_f32_e32 v30, s47, v30                                // 000000007CF4: 0A3C3C2F
	v_mul_f32_e32 v31, s47, v31                                // 000000007CF8: 0A3E3E2F
	v_cmp_u_f32_e64 s[74:75], v30, v30                         // 000000007CFC: D048004A 00023D1E
	v_bfe_u32 v208, v30, 16, 1                                 // 000000007D04: D1C800D0 0205211E
	v_add3_u32 v208, v30, v208, v211                           // 000000007D0C: D1FF00D0 074FA11E
	v_cndmask_b32_e64 v28, v208, v210, s[74:75]                // 000000007D14: D100001C 012BA5D0
	v_lshrrev_b32_e32 v28, 16, v28                             // 000000007D1C: 20383890
	v_cmp_u_f32_e64 s[74:75], v31, v31                         // 000000007D20: D048004A 00023F1F
	v_bfe_u32 v208, v31, 16, 1                                 // 000000007D28: D1C800D0 0205211F
	v_add3_u32 v208, v31, v208, v211                           // 000000007D30: D1FF00D0 074FA11F
	v_cndmask_b32_e64 v29, v208, v210, s[74:75]                // 000000007D38: D100001D 012BA5D0
	v_and_or_b32 v63, v29, v209, v28                           // 000000007D40: D201003F 0473A31D
	v_accvgpr_read_b32 v30, a112                               // 000000007D48: D3D8401E 18000170
	v_accvgpr_read_b32 v31, a113                               // 000000007D50: D3D8401F 18000171
	v_mul_f32_e32 v30, s47, v30                                // 000000007D58: 0A3C3C2F
	v_mul_f32_e32 v31, s47, v31                                // 000000007D5C: 0A3E3E2F
	v_cmp_u_f32_e64 s[74:75], v30, v30                         // 000000007D60: D048004A 00023D1E
	v_bfe_u32 v208, v30, 16, 1                                 // 000000007D68: D1C800D0 0205211E
	v_add3_u32 v208, v30, v208, v211                           // 000000007D70: D1FF00D0 074FA11E
	v_cndmask_b32_e64 v28, v208, v210, s[74:75]                // 000000007D78: D100001C 012BA5D0
	v_lshrrev_b32_e32 v28, 16, v28                             // 000000007D80: 20383890
	v_cmp_u_f32_e64 s[74:75], v31, v31                         // 000000007D84: D048004A 00023F1F
	v_bfe_u32 v208, v31, 16, 1                                 // 000000007D8C: D1C800D0 0205211F
	v_add3_u32 v208, v31, v208, v211                           // 000000007D94: D1FF00D0 074FA11F
	v_cndmask_b32_e64 v29, v208, v210, s[74:75]                // 000000007D9C: D100001D 012BA5D0
	v_and_or_b32 v64, v29, v209, v28                           // 000000007DA4: D2010040 0473A31D
	v_accvgpr_read_b32 v30, a114                               // 000000007DAC: D3D8401E 18000172
	v_accvgpr_read_b32 v31, a115                               // 000000007DB4: D3D8401F 18000173
	v_mul_f32_e32 v30, s47, v30                                // 000000007DBC: 0A3C3C2F
	v_mul_f32_e32 v31, s47, v31                                // 000000007DC0: 0A3E3E2F
	v_cmp_u_f32_e64 s[74:75], v30, v30                         // 000000007DC4: D048004A 00023D1E
	v_bfe_u32 v208, v30, 16, 1                                 // 000000007DCC: D1C800D0 0205211E
	v_add3_u32 v208, v30, v208, v211                           // 000000007DD4: D1FF00D0 074FA11E
	v_cndmask_b32_e64 v28, v208, v210, s[74:75]                // 000000007DDC: D100001C 012BA5D0
	v_lshrrev_b32_e32 v28, 16, v28                             // 000000007DE4: 20383890
	v_cmp_u_f32_e64 s[74:75], v31, v31                         // 000000007DE8: D048004A 00023F1F
	v_bfe_u32 v208, v31, 16, 1                                 // 000000007DF0: D1C800D0 0205211F
	v_add3_u32 v208, v31, v208, v211                           // 000000007DF8: D1FF00D0 074FA11F
	v_cndmask_b32_e64 v29, v208, v210, s[74:75]                // 000000007E00: D100001D 012BA5D0
	v_and_or_b32 v65, v29, v209, v28                           // 000000007E08: D2010041 0473A31D
	v_accvgpr_read_b32 v30, a116                               // 000000007E10: D3D8401E 18000174
	v_accvgpr_read_b32 v31, a117                               // 000000007E18: D3D8401F 18000175
	v_mul_f32_e32 v30, s47, v30                                // 000000007E20: 0A3C3C2F
	v_mul_f32_e32 v31, s47, v31                                // 000000007E24: 0A3E3E2F
	v_cmp_u_f32_e64 s[74:75], v30, v30                         // 000000007E28: D048004A 00023D1E
	v_bfe_u32 v208, v30, 16, 1                                 // 000000007E30: D1C800D0 0205211E
	v_add3_u32 v208, v30, v208, v211                           // 000000007E38: D1FF00D0 074FA11E
	v_cndmask_b32_e64 v28, v208, v210, s[74:75]                // 000000007E40: D100001C 012BA5D0
	v_lshrrev_b32_e32 v28, 16, v28                             // 000000007E48: 20383890
	v_cmp_u_f32_e64 s[74:75], v31, v31                         // 000000007E4C: D048004A 00023F1F
	v_bfe_u32 v208, v31, 16, 1                                 // 000000007E54: D1C800D0 0205211F
	v_add3_u32 v208, v31, v208, v211                           // 000000007E5C: D1FF00D0 074FA11F
	v_cndmask_b32_e64 v29, v208, v210, s[74:75]                // 000000007E64: D100001D 012BA5D0
	v_and_or_b32 v66, v29, v209, v28                           // 000000007E6C: D2010042 0473A31D
	v_accvgpr_read_b32 v30, a118                               // 000000007E74: D3D8401E 18000176
	v_accvgpr_read_b32 v31, a119                               // 000000007E7C: D3D8401F 18000177
	v_mul_f32_e32 v30, s47, v30                                // 000000007E84: 0A3C3C2F
	v_mul_f32_e32 v31, s47, v31                                // 000000007E88: 0A3E3E2F
	v_cmp_u_f32_e64 s[74:75], v30, v30                         // 000000007E8C: D048004A 00023D1E
	v_bfe_u32 v208, v30, 16, 1                                 // 000000007E94: D1C800D0 0205211E
	v_add3_u32 v208, v30, v208, v211                           // 000000007E9C: D1FF00D0 074FA11E
	v_cndmask_b32_e64 v28, v208, v210, s[74:75]                // 000000007EA4: D100001C 012BA5D0
	v_lshrrev_b32_e32 v28, 16, v28                             // 000000007EAC: 20383890
	v_cmp_u_f32_e64 s[74:75], v31, v31                         // 000000007EB0: D048004A 00023F1F
	v_bfe_u32 v208, v31, 16, 1                                 // 000000007EB8: D1C800D0 0205211F
	v_add3_u32 v208, v31, v208, v211                           // 000000007EC0: D1FF00D0 074FA11F
	v_cndmask_b32_e64 v29, v208, v210, s[74:75]                // 000000007EC8: D100001D 012BA5D0
	v_and_or_b32 v67, v29, v209, v28                           // 000000007ED0: D2010043 0473A31D
	v_accvgpr_read_b32 v30, a120                               // 000000007ED8: D3D8401E 18000178
	v_accvgpr_read_b32 v31, a121                               // 000000007EE0: D3D8401F 18000179
	v_mul_f32_e32 v30, s47, v30                                // 000000007EE8: 0A3C3C2F
	v_mul_f32_e32 v31, s47, v31                                // 000000007EEC: 0A3E3E2F
	v_cmp_u_f32_e64 s[74:75], v30, v30                         // 000000007EF0: D048004A 00023D1E
	v_bfe_u32 v208, v30, 16, 1                                 // 000000007EF8: D1C800D0 0205211E
	v_add3_u32 v208, v30, v208, v211                           // 000000007F00: D1FF00D0 074FA11E
	v_cndmask_b32_e64 v28, v208, v210, s[74:75]                // 000000007F08: D100001C 012BA5D0
	v_lshrrev_b32_e32 v28, 16, v28                             // 000000007F10: 20383890
	v_cmp_u_f32_e64 s[74:75], v31, v31                         // 000000007F14: D048004A 00023F1F
	v_bfe_u32 v208, v31, 16, 1                                 // 000000007F1C: D1C800D0 0205211F
	v_add3_u32 v208, v31, v208, v211                           // 000000007F24: D1FF00D0 074FA11F
	v_cndmask_b32_e64 v29, v208, v210, s[74:75]                // 000000007F2C: D100001D 012BA5D0
	v_and_or_b32 v68, v29, v209, v28                           // 000000007F34: D2010044 0473A31D
	v_accvgpr_read_b32 v30, a122                               // 000000007F3C: D3D8401E 1800017A
	v_accvgpr_read_b32 v31, a123                               // 000000007F44: D3D8401F 1800017B
	v_mul_f32_e32 v30, s47, v30                                // 000000007F4C: 0A3C3C2F
	v_mul_f32_e32 v31, s47, v31                                // 000000007F50: 0A3E3E2F
	v_cmp_u_f32_e64 s[74:75], v30, v30                         // 000000007F54: D048004A 00023D1E
	v_bfe_u32 v208, v30, 16, 1                                 // 000000007F5C: D1C800D0 0205211E
	v_add3_u32 v208, v30, v208, v211                           // 000000007F64: D1FF00D0 074FA11E
	v_cndmask_b32_e64 v28, v208, v210, s[74:75]                // 000000007F6C: D100001C 012BA5D0
	v_lshrrev_b32_e32 v28, 16, v28                             // 000000007F74: 20383890
	v_cmp_u_f32_e64 s[74:75], v31, v31                         // 000000007F78: D048004A 00023F1F
	v_bfe_u32 v208, v31, 16, 1                                 // 000000007F80: D1C800D0 0205211F
	v_add3_u32 v208, v31, v208, v211                           // 000000007F88: D1FF00D0 074FA11F
	v_cndmask_b32_e64 v29, v208, v210, s[74:75]                // 000000007F90: D100001D 012BA5D0
	v_and_or_b32 v69, v29, v209, v28                           // 000000007F98: D2010045 0473A31D
	v_accvgpr_read_b32 v30, a124                               // 000000007FA0: D3D8401E 1800017C
	v_accvgpr_read_b32 v31, a125                               // 000000007FA8: D3D8401F 1800017D
	v_mul_f32_e32 v30, s47, v30                                // 000000007FB0: 0A3C3C2F
	v_mul_f32_e32 v31, s47, v31                                // 000000007FB4: 0A3E3E2F
	v_cmp_u_f32_e64 s[74:75], v30, v30                         // 000000007FB8: D048004A 00023D1E
	v_bfe_u32 v208, v30, 16, 1                                 // 000000007FC0: D1C800D0 0205211E
	v_add3_u32 v208, v30, v208, v211                           // 000000007FC8: D1FF00D0 074FA11E
	v_cndmask_b32_e64 v28, v208, v210, s[74:75]                // 000000007FD0: D100001C 012BA5D0
	v_lshrrev_b32_e32 v28, 16, v28                             // 000000007FD8: 20383890
	v_cmp_u_f32_e64 s[74:75], v31, v31                         // 000000007FDC: D048004A 00023F1F
	v_bfe_u32 v208, v31, 16, 1                                 // 000000007FE4: D1C800D0 0205211F
	v_add3_u32 v208, v31, v208, v211                           // 000000007FEC: D1FF00D0 074FA11F
	v_cndmask_b32_e64 v29, v208, v210, s[74:75]                // 000000007FF4: D100001D 012BA5D0
	v_and_or_b32 v70, v29, v209, v28                           // 000000007FFC: D2010046 0473A31D
	v_accvgpr_read_b32 v30, a126                               // 000000008004: D3D8401E 1800017E
	v_accvgpr_read_b32 v31, a127                               // 00000000800C: D3D8401F 1800017F
	v_mul_f32_e32 v30, s47, v30                                // 000000008014: 0A3C3C2F
	v_mul_f32_e32 v31, s47, v31                                // 000000008018: 0A3E3E2F
	v_cmp_u_f32_e64 s[74:75], v30, v30                         // 00000000801C: D048004A 00023D1E
	v_bfe_u32 v208, v30, 16, 1                                 // 000000008024: D1C800D0 0205211E
	v_add3_u32 v208, v30, v208, v211                           // 00000000802C: D1FF00D0 074FA11E
	v_cndmask_b32_e64 v28, v208, v210, s[74:75]                // 000000008034: D100001C 012BA5D0
	v_lshrrev_b32_e32 v28, 16, v28                             // 00000000803C: 20383890
	v_cmp_u_f32_e64 s[74:75], v31, v31                         // 000000008040: D048004A 00023F1F
	v_bfe_u32 v208, v31, 16, 1                                 // 000000008048: D1C800D0 0205211F
	v_add3_u32 v208, v31, v208, v211                           // 000000008050: D1FF00D0 074FA11F
	v_cndmask_b32_e64 v29, v208, v210, s[74:75]                // 000000008058: D100001D 012BA5D0
	v_and_or_b32 v71, v29, v209, v28                           // 000000008060: D2010047 0473A31D
	v_accvgpr_read_b32 v30, a128                               // 000000008068: D3D8401E 18000180
	v_accvgpr_read_b32 v31, a129                               // 000000008070: D3D8401F 18000181
	v_mul_f32_e32 v30, s47, v30                                // 000000008078: 0A3C3C2F
	v_mul_f32_e32 v31, s47, v31                                // 00000000807C: 0A3E3E2F
	v_cmp_u_f32_e64 s[74:75], v30, v30                         // 000000008080: D048004A 00023D1E
	v_bfe_u32 v208, v30, 16, 1                                 // 000000008088: D1C800D0 0205211E
	v_add3_u32 v208, v30, v208, v211                           // 000000008090: D1FF00D0 074FA11E
	v_cndmask_b32_e64 v28, v208, v210, s[74:75]                // 000000008098: D100001C 012BA5D0
	v_lshrrev_b32_e32 v28, 16, v28                             // 0000000080A0: 20383890
	v_cmp_u_f32_e64 s[74:75], v31, v31                         // 0000000080A4: D048004A 00023F1F
	v_bfe_u32 v208, v31, 16, 1                                 // 0000000080AC: D1C800D0 0205211F
	v_add3_u32 v208, v31, v208, v211                           // 0000000080B4: D1FF00D0 074FA11F
	v_cndmask_b32_e64 v29, v208, v210, s[74:75]                // 0000000080BC: D100001D 012BA5D0
	v_and_or_b32 v72, v29, v209, v28                           // 0000000080C4: D2010048 0473A31D
	v_accvgpr_read_b32 v30, a130                               // 0000000080CC: D3D8401E 18000182
	v_accvgpr_read_b32 v31, a131                               // 0000000080D4: D3D8401F 18000183
	v_mul_f32_e32 v30, s47, v30                                // 0000000080DC: 0A3C3C2F
	v_mul_f32_e32 v31, s47, v31                                // 0000000080E0: 0A3E3E2F
	v_cmp_u_f32_e64 s[74:75], v30, v30                         // 0000000080E4: D048004A 00023D1E
	v_bfe_u32 v208, v30, 16, 1                                 // 0000000080EC: D1C800D0 0205211E
	v_add3_u32 v208, v30, v208, v211                           // 0000000080F4: D1FF00D0 074FA11E
	v_cndmask_b32_e64 v28, v208, v210, s[74:75]                // 0000000080FC: D100001C 012BA5D0
	v_lshrrev_b32_e32 v28, 16, v28                             // 000000008104: 20383890
	v_cmp_u_f32_e64 s[74:75], v31, v31                         // 000000008108: D048004A 00023F1F
	v_bfe_u32 v208, v31, 16, 1                                 // 000000008110: D1C800D0 0205211F
	v_add3_u32 v208, v31, v208, v211                           // 000000008118: D1FF00D0 074FA11F
	v_cndmask_b32_e64 v29, v208, v210, s[74:75]                // 000000008120: D100001D 012BA5D0
	v_and_or_b32 v73, v29, v209, v28                           // 000000008128: D2010049 0473A31D
	v_accvgpr_read_b32 v30, a132                               // 000000008130: D3D8401E 18000184
	v_accvgpr_read_b32 v31, a133                               // 000000008138: D3D8401F 18000185
	v_mul_f32_e32 v30, s47, v30                                // 000000008140: 0A3C3C2F
	v_mul_f32_e32 v31, s47, v31                                // 000000008144: 0A3E3E2F
	v_cmp_u_f32_e64 s[74:75], v30, v30                         // 000000008148: D048004A 00023D1E
	v_bfe_u32 v208, v30, 16, 1                                 // 000000008150: D1C800D0 0205211E
	v_add3_u32 v208, v30, v208, v211                           // 000000008158: D1FF00D0 074FA11E
	v_cndmask_b32_e64 v28, v208, v210, s[74:75]                // 000000008160: D100001C 012BA5D0
	v_lshrrev_b32_e32 v28, 16, v28                             // 000000008168: 20383890
	v_cmp_u_f32_e64 s[74:75], v31, v31                         // 00000000816C: D048004A 00023F1F
	v_bfe_u32 v208, v31, 16, 1                                 // 000000008174: D1C800D0 0205211F
	v_add3_u32 v208, v31, v208, v211                           // 00000000817C: D1FF00D0 074FA11F
	v_cndmask_b32_e64 v29, v208, v210, s[74:75]                // 000000008184: D100001D 012BA5D0
	v_and_or_b32 v74, v29, v209, v28                           // 00000000818C: D201004A 0473A31D
	v_accvgpr_read_b32 v30, a134                               // 000000008194: D3D8401E 18000186
	v_accvgpr_read_b32 v31, a135                               // 00000000819C: D3D8401F 18000187
	v_mul_f32_e32 v30, s47, v30                                // 0000000081A4: 0A3C3C2F
	v_mul_f32_e32 v31, s47, v31                                // 0000000081A8: 0A3E3E2F
	v_cmp_u_f32_e64 s[74:75], v30, v30                         // 0000000081AC: D048004A 00023D1E
	v_bfe_u32 v208, v30, 16, 1                                 // 0000000081B4: D1C800D0 0205211E
	v_add3_u32 v208, v30, v208, v211                           // 0000000081BC: D1FF00D0 074FA11E
	v_cndmask_b32_e64 v28, v208, v210, s[74:75]                // 0000000081C4: D100001C 012BA5D0
	v_lshrrev_b32_e32 v28, 16, v28                             // 0000000081CC: 20383890
	v_cmp_u_f32_e64 s[74:75], v31, v31                         // 0000000081D0: D048004A 00023F1F
	v_bfe_u32 v208, v31, 16, 1                                 // 0000000081D8: D1C800D0 0205211F
	v_add3_u32 v208, v31, v208, v211                           // 0000000081E0: D1FF00D0 074FA11F
	v_cndmask_b32_e64 v29, v208, v210, s[74:75]                // 0000000081E8: D100001D 012BA5D0
	v_and_or_b32 v75, v29, v209, v28                           // 0000000081F0: D201004B 0473A31D
	v_accvgpr_read_b32 v30, a136                               // 0000000081F8: D3D8401E 18000188
	v_accvgpr_read_b32 v31, a137                               // 000000008200: D3D8401F 18000189
	v_mul_f32_e32 v30, s47, v30                                // 000000008208: 0A3C3C2F
	v_mul_f32_e32 v31, s47, v31                                // 00000000820C: 0A3E3E2F
	v_cmp_u_f32_e64 s[74:75], v30, v30                         // 000000008210: D048004A 00023D1E
	v_bfe_u32 v208, v30, 16, 1                                 // 000000008218: D1C800D0 0205211E
	v_add3_u32 v208, v30, v208, v211                           // 000000008220: D1FF00D0 074FA11E
	v_cndmask_b32_e64 v28, v208, v210, s[74:75]                // 000000008228: D100001C 012BA5D0
	v_lshrrev_b32_e32 v28, 16, v28                             // 000000008230: 20383890
	v_cmp_u_f32_e64 s[74:75], v31, v31                         // 000000008234: D048004A 00023F1F
	v_bfe_u32 v208, v31, 16, 1                                 // 00000000823C: D1C800D0 0205211F
	v_add3_u32 v208, v31, v208, v211                           // 000000008244: D1FF00D0 074FA11F
	v_cndmask_b32_e64 v29, v208, v210, s[74:75]                // 00000000824C: D100001D 012BA5D0
	v_and_or_b32 v76, v29, v209, v28                           // 000000008254: D201004C 0473A31D
	v_accvgpr_read_b32 v30, a138                               // 00000000825C: D3D8401E 1800018A
	v_accvgpr_read_b32 v31, a139                               // 000000008264: D3D8401F 1800018B
	v_mul_f32_e32 v30, s47, v30                                // 00000000826C: 0A3C3C2F
	v_mul_f32_e32 v31, s47, v31                                // 000000008270: 0A3E3E2F
	v_cmp_u_f32_e64 s[74:75], v30, v30                         // 000000008274: D048004A 00023D1E
	v_bfe_u32 v208, v30, 16, 1                                 // 00000000827C: D1C800D0 0205211E
	v_add3_u32 v208, v30, v208, v211                           // 000000008284: D1FF00D0 074FA11E
	v_cndmask_b32_e64 v28, v208, v210, s[74:75]                // 00000000828C: D100001C 012BA5D0
	v_lshrrev_b32_e32 v28, 16, v28                             // 000000008294: 20383890
	v_cmp_u_f32_e64 s[74:75], v31, v31                         // 000000008298: D048004A 00023F1F
	v_bfe_u32 v208, v31, 16, 1                                 // 0000000082A0: D1C800D0 0205211F
	v_add3_u32 v208, v31, v208, v211                           // 0000000082A8: D1FF00D0 074FA11F
	v_cndmask_b32_e64 v29, v208, v210, s[74:75]                // 0000000082B0: D100001D 012BA5D0
	v_and_or_b32 v77, v29, v209, v28                           // 0000000082B8: D201004D 0473A31D
	v_accvgpr_read_b32 v30, a140                               // 0000000082C0: D3D8401E 1800018C
	v_accvgpr_read_b32 v31, a141                               // 0000000082C8: D3D8401F 1800018D
	v_mul_f32_e32 v30, s47, v30                                // 0000000082D0: 0A3C3C2F
	v_mul_f32_e32 v31, s47, v31                                // 0000000082D4: 0A3E3E2F
	v_cmp_u_f32_e64 s[74:75], v30, v30                         // 0000000082D8: D048004A 00023D1E
	v_bfe_u32 v208, v30, 16, 1                                 // 0000000082E0: D1C800D0 0205211E
	v_add3_u32 v208, v30, v208, v211                           // 0000000082E8: D1FF00D0 074FA11E
	v_cndmask_b32_e64 v28, v208, v210, s[74:75]                // 0000000082F0: D100001C 012BA5D0
	v_lshrrev_b32_e32 v28, 16, v28                             // 0000000082F8: 20383890
	v_cmp_u_f32_e64 s[74:75], v31, v31                         // 0000000082FC: D048004A 00023F1F
	v_bfe_u32 v208, v31, 16, 1                                 // 000000008304: D1C800D0 0205211F
	v_add3_u32 v208, v31, v208, v211                           // 00000000830C: D1FF00D0 074FA11F
	v_cndmask_b32_e64 v29, v208, v210, s[74:75]                // 000000008314: D100001D 012BA5D0
	v_and_or_b32 v78, v29, v209, v28                           // 00000000831C: D201004E 0473A31D
	v_accvgpr_read_b32 v30, a142                               // 000000008324: D3D8401E 1800018E
	v_accvgpr_read_b32 v31, a143                               // 00000000832C: D3D8401F 1800018F
	v_mul_f32_e32 v30, s47, v30                                // 000000008334: 0A3C3C2F
	v_mul_f32_e32 v31, s47, v31                                // 000000008338: 0A3E3E2F
	v_cmp_u_f32_e64 s[74:75], v30, v30                         // 00000000833C: D048004A 00023D1E
	v_bfe_u32 v208, v30, 16, 1                                 // 000000008344: D1C800D0 0205211E
	v_add3_u32 v208, v30, v208, v211                           // 00000000834C: D1FF00D0 074FA11E
	v_cndmask_b32_e64 v28, v208, v210, s[74:75]                // 000000008354: D100001C 012BA5D0
	v_lshrrev_b32_e32 v28, 16, v28                             // 00000000835C: 20383890
	v_cmp_u_f32_e64 s[74:75], v31, v31                         // 000000008360: D048004A 00023F1F
	v_bfe_u32 v208, v31, 16, 1                                 // 000000008368: D1C800D0 0205211F
	v_add3_u32 v208, v31, v208, v211                           // 000000008370: D1FF00D0 074FA11F
	v_cndmask_b32_e64 v29, v208, v210, s[74:75]                // 000000008378: D100001D 012BA5D0
	v_and_or_b32 v79, v29, v209, v28                           // 000000008380: D201004F 0473A31D
	ds_write_b64 v25, v[56:57]                                 // 000000008388: D89A0000 00003819
	ds_write_b64 v25, v[58:59] offset:544                      // 000000008390: D89A0220 00003A19
	ds_write_b64 v25, v[60:61] offset:1088                     // 000000008398: D89A0440 00003C19
	ds_write_b64 v25, v[62:63] offset:1632                     // 0000000083A0: D89A0660 00003E19
	ds_write_b64 v25, v[64:65] offset:2176                     // 0000000083A8: D89A0880 00004019
	ds_write_b64 v25, v[66:67] offset:2720                     // 0000000083B0: D89A0AA0 00004219
	ds_write_b64 v25, v[68:69] offset:3264                     // 0000000083B8: D89A0CC0 00004419
	ds_write_b64 v25, v[70:71] offset:3808                     // 0000000083C0: D89A0EE0 00004619
	ds_write_b64 v25, v[72:73] offset:4352                     // 0000000083C8: D89A1100 00004819
	ds_write_b64 v25, v[74:75] offset:4896                     // 0000000083D0: D89A1320 00004A19
	ds_write_b64 v25, v[76:77] offset:5440                     // 0000000083D8: D89A1540 00004C19
	ds_write_b64 v25, v[78:79] offset:5984                     // 0000000083E0: D89A1760 00004E19
	s_waitcnt lgkmcnt(0)                                       // 0000000083E8: BF8CC07F
	s_barrier                                                  // 0000000083EC: BF8A0000
	ds_read_b64 v[56:57], v24                                  // 0000000083F0: D8EC0000 38000018
	ds_read_b64 v[58:59], v24 offset:128                       // 0000000083F8: D8EC0080 3A000018
	ds_read_b64 v[60:61], v24 offset:64                        // 000000008400: D8EC0040 3C000018
	ds_read_b64 v[62:63], v24 offset:192                       // 000000008408: D8EC00C0 3E000018
	ds_read_b64 v[64:65], v24 offset:2176                      // 000000008410: D8EC0880 40000018
	ds_read_b64 v[66:67], v24 offset:2304                      // 000000008418: D8EC0900 42000018
	ds_read_b64 v[68:69], v24 offset:2240                      // 000000008420: D8EC08C0 44000018
	ds_read_b64 v[70:71], v24 offset:2368                      // 000000008428: D8EC0940 46000018
	ds_read_b64 v[72:73], v24 offset:4352                      // 000000008430: D8EC1100 48000018
	ds_read_b64 v[74:75], v24 offset:4480                      // 000000008438: D8EC1180 4A000018
	ds_read_b64 v[76:77], v24 offset:4416                      // 000000008440: D8EC1140 4C000018
	ds_read_b64 v[78:79], v24 offset:4544                      // 000000008448: D8EC11C0 4E000018
	s_waitcnt lgkmcnt(0)                                       // 000000008450: BF8CC07F
	buffer_store_dwordx4 v[56:59], v3, s[36:39], 0 idxen       // 000000008454: E07C2000 80093803
	v_add_u32_e32 v3, 32, v3                                   // 00000000845C: 680606A0
	buffer_store_dwordx4 v[60:63], v4, s[36:39], 0 idxen       // 000000008460: E07C2000 80093C04
	v_add_u32_e32 v4, 32, v4                                   // 000000008468: 680808A0
	buffer_store_dwordx4 v[64:67], v3, s[36:39], 0 idxen       // 00000000846C: E07C2000 80094003
	v_add_u32_e32 v3, 32, v3                                   // 000000008474: 680606A0
	buffer_store_dwordx4 v[68:71], v4, s[36:39], 0 idxen       // 000000008478: E07C2000 80094404
	v_add_u32_e32 v4, 32, v4                                   // 000000008480: 680808A0
	s_mov_b64 exec, s[90:91]                                   // 000000008484: BEFE015A
	buffer_store_dwordx4 v[72:75], v3, s[36:39], 0 idxen       // 000000008488: E07C2000 80094803
	s_mov_b64 exec, s[86:87]                                   // 000000008490: BEFE0156
	v_add_u32_e32 v3, 32, v3                                   // 000000008494: 680606A0
	s_mov_b64 exec, s[90:91]                                   // 000000008498: BEFE015A
	buffer_store_dwordx4 v[76:79], v4, s[36:39], 0 idxen       // 00000000849C: E07C2000 80094C04
	s_mov_b64 exec, s[86:87]                                   // 0000000084A4: BEFE0156
	v_add_u32_e32 v4, 32, v4                                   // 0000000084A8: 680808A0
	s_barrier                                                  // 0000000084AC: BF8A0000
	v_mov_b32_e32 v30, v160                                    // 0000000084B0: 7E3C03A0
	v_mov_b32_e32 v31, v161                                    // 0000000084B4: 7E3E03A1
	v_cmp_u_f32_e64 s[74:75], v30, v30                         // 0000000084B8: D048004A 00023D1E
	v_bfe_u32 v208, v30, 16, 1                                 // 0000000084C0: D1C800D0 0205211E
	v_add3_u32 v208, v30, v208, v211                           // 0000000084C8: D1FF00D0 074FA11E
	v_cndmask_b32_e64 v28, v208, v210, s[74:75]                // 0000000084D0: D100001C 012BA5D0
	v_lshrrev_b32_e32 v28, 16, v28                             // 0000000084D8: 20383890
	v_cmp_u_f32_e64 s[74:75], v31, v31                         // 0000000084DC: D048004A 00023F1F
	v_bfe_u32 v208, v31, 16, 1                                 // 0000000084E4: D1C800D0 0205211F
	v_add3_u32 v208, v31, v208, v211                           // 0000000084EC: D1FF00D0 074FA11F
	v_cndmask_b32_e64 v29, v208, v210, s[74:75]                // 0000000084F4: D100001D 012BA5D0
	v_and_or_b32 v160, v29, v209, v28                          // 0000000084FC: D20100A0 0473A31D
	v_mov_b32_e32 v30, v162                                    // 000000008504: 7E3C03A2
	v_mov_b32_e32 v31, v163                                    // 000000008508: 7E3E03A3
	v_cmp_u_f32_e64 s[74:75], v30, v30                         // 00000000850C: D048004A 00023D1E
	v_bfe_u32 v208, v30, 16, 1                                 // 000000008514: D1C800D0 0205211E
	v_add3_u32 v208, v30, v208, v211                           // 00000000851C: D1FF00D0 074FA11E
	v_cndmask_b32_e64 v28, v208, v210, s[74:75]                // 000000008524: D100001C 012BA5D0
	v_lshrrev_b32_e32 v28, 16, v28                             // 00000000852C: 20383890
	v_cmp_u_f32_e64 s[74:75], v31, v31                         // 000000008530: D048004A 00023F1F
	v_bfe_u32 v208, v31, 16, 1                                 // 000000008538: D1C800D0 0205211F
	v_add3_u32 v208, v31, v208, v211                           // 000000008540: D1FF00D0 074FA11F
	v_cndmask_b32_e64 v29, v208, v210, s[74:75]                // 000000008548: D100001D 012BA5D0
	v_and_or_b32 v161, v29, v209, v28                          // 000000008550: D20100A1 0473A31D
	v_mov_b32_e32 v30, v164                                    // 000000008558: 7E3C03A4
	v_mov_b32_e32 v31, v165                                    // 00000000855C: 7E3E03A5
	v_cmp_u_f32_e64 s[74:75], v30, v30                         // 000000008560: D048004A 00023D1E
	v_bfe_u32 v208, v30, 16, 1                                 // 000000008568: D1C800D0 0205211E
	v_add3_u32 v208, v30, v208, v211                           // 000000008570: D1FF00D0 074FA11E
	v_cndmask_b32_e64 v28, v208, v210, s[74:75]                // 000000008578: D100001C 012BA5D0
	v_lshrrev_b32_e32 v28, 16, v28                             // 000000008580: 20383890
	v_cmp_u_f32_e64 s[74:75], v31, v31                         // 000000008584: D048004A 00023F1F
	v_bfe_u32 v208, v31, 16, 1                                 // 00000000858C: D1C800D0 0205211F
	v_add3_u32 v208, v31, v208, v211                           // 000000008594: D1FF00D0 074FA11F
	v_cndmask_b32_e64 v29, v208, v210, s[74:75]                // 00000000859C: D100001D 012BA5D0
	v_and_or_b32 v162, v29, v209, v28                          // 0000000085A4: D20100A2 0473A31D
	v_mov_b32_e32 v30, v166                                    // 0000000085AC: 7E3C03A6
	v_mov_b32_e32 v31, v167                                    // 0000000085B0: 7E3E03A7
	v_cmp_u_f32_e64 s[74:75], v30, v30                         // 0000000085B4: D048004A 00023D1E
	v_bfe_u32 v208, v30, 16, 1                                 // 0000000085BC: D1C800D0 0205211E
	v_add3_u32 v208, v30, v208, v211                           // 0000000085C4: D1FF00D0 074FA11E
	v_cndmask_b32_e64 v28, v208, v210, s[74:75]                // 0000000085CC: D100001C 012BA5D0
	v_lshrrev_b32_e32 v28, 16, v28                             // 0000000085D4: 20383890
	v_cmp_u_f32_e64 s[74:75], v31, v31                         // 0000000085D8: D048004A 00023F1F
	v_bfe_u32 v208, v31, 16, 1                                 // 0000000085E0: D1C800D0 0205211F
	v_add3_u32 v208, v31, v208, v211                           // 0000000085E8: D1FF00D0 074FA11F
	v_cndmask_b32_e64 v29, v208, v210, s[74:75]                // 0000000085F0: D100001D 012BA5D0
	v_and_or_b32 v163, v29, v209, v28                          // 0000000085F8: D20100A3 0473A31D
	v_mov_b32_e32 v30, v168                                    // 000000008600: 7E3C03A8
	v_mov_b32_e32 v31, v169                                    // 000000008604: 7E3E03A9
	v_cmp_u_f32_e64 s[74:75], v30, v30                         // 000000008608: D048004A 00023D1E
	v_bfe_u32 v208, v30, 16, 1                                 // 000000008610: D1C800D0 0205211E
	v_add3_u32 v208, v30, v208, v211                           // 000000008618: D1FF00D0 074FA11E
	v_cndmask_b32_e64 v28, v208, v210, s[74:75]                // 000000008620: D100001C 012BA5D0
	v_lshrrev_b32_e32 v28, 16, v28                             // 000000008628: 20383890
	v_cmp_u_f32_e64 s[74:75], v31, v31                         // 00000000862C: D048004A 00023F1F
	v_bfe_u32 v208, v31, 16, 1                                 // 000000008634: D1C800D0 0205211F
	v_add3_u32 v208, v31, v208, v211                           // 00000000863C: D1FF00D0 074FA11F
	v_cndmask_b32_e64 v29, v208, v210, s[74:75]                // 000000008644: D100001D 012BA5D0
	v_and_or_b32 v164, v29, v209, v28                          // 00000000864C: D20100A4 0473A31D
	v_mov_b32_e32 v30, v170                                    // 000000008654: 7E3C03AA
	v_mov_b32_e32 v31, v171                                    // 000000008658: 7E3E03AB
	v_cmp_u_f32_e64 s[74:75], v30, v30                         // 00000000865C: D048004A 00023D1E
	v_bfe_u32 v208, v30, 16, 1                                 // 000000008664: D1C800D0 0205211E
	v_add3_u32 v208, v30, v208, v211                           // 00000000866C: D1FF00D0 074FA11E
	v_cndmask_b32_e64 v28, v208, v210, s[74:75]                // 000000008674: D100001C 012BA5D0
	v_lshrrev_b32_e32 v28, 16, v28                             // 00000000867C: 20383890
	v_cmp_u_f32_e64 s[74:75], v31, v31                         // 000000008680: D048004A 00023F1F
	v_bfe_u32 v208, v31, 16, 1                                 // 000000008688: D1C800D0 0205211F
	v_add3_u32 v208, v31, v208, v211                           // 000000008690: D1FF00D0 074FA11F
	v_cndmask_b32_e64 v29, v208, v210, s[74:75]                // 000000008698: D100001D 012BA5D0
	v_and_or_b32 v165, v29, v209, v28                          // 0000000086A0: D20100A5 0473A31D
	v_mov_b32_e32 v30, v172                                    // 0000000086A8: 7E3C03AC
	v_mov_b32_e32 v31, v173                                    // 0000000086AC: 7E3E03AD
	v_cmp_u_f32_e64 s[74:75], v30, v30                         // 0000000086B0: D048004A 00023D1E
	v_bfe_u32 v208, v30, 16, 1                                 // 0000000086B8: D1C800D0 0205211E
	v_add3_u32 v208, v30, v208, v211                           // 0000000086C0: D1FF00D0 074FA11E
	v_cndmask_b32_e64 v28, v208, v210, s[74:75]                // 0000000086C8: D100001C 012BA5D0
	v_lshrrev_b32_e32 v28, 16, v28                             // 0000000086D0: 20383890
	v_cmp_u_f32_e64 s[74:75], v31, v31                         // 0000000086D4: D048004A 00023F1F
	v_bfe_u32 v208, v31, 16, 1                                 // 0000000086DC: D1C800D0 0205211F
	v_add3_u32 v208, v31, v208, v211                           // 0000000086E4: D1FF00D0 074FA11F
	v_cndmask_b32_e64 v29, v208, v210, s[74:75]                // 0000000086EC: D100001D 012BA5D0
	v_and_or_b32 v166, v29, v209, v28                          // 0000000086F4: D20100A6 0473A31D
	v_mov_b32_e32 v30, v174                                    // 0000000086FC: 7E3C03AE
	v_mov_b32_e32 v31, v175                                    // 000000008700: 7E3E03AF
	v_cmp_u_f32_e64 s[74:75], v30, v30                         // 000000008704: D048004A 00023D1E
	v_bfe_u32 v208, v30, 16, 1                                 // 00000000870C: D1C800D0 0205211E
	v_add3_u32 v208, v30, v208, v211                           // 000000008714: D1FF00D0 074FA11E
	v_cndmask_b32_e64 v28, v208, v210, s[74:75]                // 00000000871C: D100001C 012BA5D0
	v_lshrrev_b32_e32 v28, 16, v28                             // 000000008724: 20383890
	v_cmp_u_f32_e64 s[74:75], v31, v31                         // 000000008728: D048004A 00023F1F
	v_bfe_u32 v208, v31, 16, 1                                 // 000000008730: D1C800D0 0205211F
	v_add3_u32 v208, v31, v208, v211                           // 000000008738: D1FF00D0 074FA11F
	v_cndmask_b32_e64 v29, v208, v210, s[74:75]                // 000000008740: D100001D 012BA5D0
	v_and_or_b32 v167, v29, v209, v28                          // 000000008748: D20100A7 0473A31D
	v_mov_b32_e32 v30, v176                                    // 000000008750: 7E3C03B0
	v_mov_b32_e32 v31, v177                                    // 000000008754: 7E3E03B1
	v_cmp_u_f32_e64 s[74:75], v30, v30                         // 000000008758: D048004A 00023D1E
	v_bfe_u32 v208, v30, 16, 1                                 // 000000008760: D1C800D0 0205211E
	v_add3_u32 v208, v30, v208, v211                           // 000000008768: D1FF00D0 074FA11E
	v_cndmask_b32_e64 v28, v208, v210, s[74:75]                // 000000008770: D100001C 012BA5D0
	v_lshrrev_b32_e32 v28, 16, v28                             // 000000008778: 20383890
	v_cmp_u_f32_e64 s[74:75], v31, v31                         // 00000000877C: D048004A 00023F1F
	v_bfe_u32 v208, v31, 16, 1                                 // 000000008784: D1C800D0 0205211F
	v_add3_u32 v208, v31, v208, v211                           // 00000000878C: D1FF00D0 074FA11F
	v_cndmask_b32_e64 v29, v208, v210, s[74:75]                // 000000008794: D100001D 012BA5D0
	v_and_or_b32 v168, v29, v209, v28                          // 00000000879C: D20100A8 0473A31D
	v_mov_b32_e32 v30, v178                                    // 0000000087A4: 7E3C03B2
	v_mov_b32_e32 v31, v179                                    // 0000000087A8: 7E3E03B3
	v_cmp_u_f32_e64 s[74:75], v30, v30                         // 0000000087AC: D048004A 00023D1E
	v_bfe_u32 v208, v30, 16, 1                                 // 0000000087B4: D1C800D0 0205211E
	v_add3_u32 v208, v30, v208, v211                           // 0000000087BC: D1FF00D0 074FA11E
	v_cndmask_b32_e64 v28, v208, v210, s[74:75]                // 0000000087C4: D100001C 012BA5D0
	v_lshrrev_b32_e32 v28, 16, v28                             // 0000000087CC: 20383890
	v_cmp_u_f32_e64 s[74:75], v31, v31                         // 0000000087D0: D048004A 00023F1F
	v_bfe_u32 v208, v31, 16, 1                                 // 0000000087D8: D1C800D0 0205211F
	v_add3_u32 v208, v31, v208, v211                           // 0000000087E0: D1FF00D0 074FA11F
	v_cndmask_b32_e64 v29, v208, v210, s[74:75]                // 0000000087E8: D100001D 012BA5D0
	v_and_or_b32 v169, v29, v209, v28                          // 0000000087F0: D20100A9 0473A31D
	v_mov_b32_e32 v30, v180                                    // 0000000087F8: 7E3C03B4
	v_mov_b32_e32 v31, v181                                    // 0000000087FC: 7E3E03B5
	v_cmp_u_f32_e64 s[74:75], v30, v30                         // 000000008800: D048004A 00023D1E
	v_bfe_u32 v208, v30, 16, 1                                 // 000000008808: D1C800D0 0205211E
	v_add3_u32 v208, v30, v208, v211                           // 000000008810: D1FF00D0 074FA11E
	v_cndmask_b32_e64 v28, v208, v210, s[74:75]                // 000000008818: D100001C 012BA5D0
	v_lshrrev_b32_e32 v28, 16, v28                             // 000000008820: 20383890
	v_cmp_u_f32_e64 s[74:75], v31, v31                         // 000000008824: D048004A 00023F1F
	v_bfe_u32 v208, v31, 16, 1                                 // 00000000882C: D1C800D0 0205211F
	v_add3_u32 v208, v31, v208, v211                           // 000000008834: D1FF00D0 074FA11F
	v_cndmask_b32_e64 v29, v208, v210, s[74:75]                // 00000000883C: D100001D 012BA5D0
	v_and_or_b32 v170, v29, v209, v28                          // 000000008844: D20100AA 0473A31D
	v_mov_b32_e32 v30, v182                                    // 00000000884C: 7E3C03B6
	v_mov_b32_e32 v31, v183                                    // 000000008850: 7E3E03B7
	v_cmp_u_f32_e64 s[74:75], v30, v30                         // 000000008854: D048004A 00023D1E
	v_bfe_u32 v208, v30, 16, 1                                 // 00000000885C: D1C800D0 0205211E
	v_add3_u32 v208, v30, v208, v211                           // 000000008864: D1FF00D0 074FA11E
	v_cndmask_b32_e64 v28, v208, v210, s[74:75]                // 00000000886C: D100001C 012BA5D0
	v_lshrrev_b32_e32 v28, 16, v28                             // 000000008874: 20383890
	v_cmp_u_f32_e64 s[74:75], v31, v31                         // 000000008878: D048004A 00023F1F
	v_bfe_u32 v208, v31, 16, 1                                 // 000000008880: D1C800D0 0205211F
	v_add3_u32 v208, v31, v208, v211                           // 000000008888: D1FF00D0 074FA11F
	v_cndmask_b32_e64 v29, v208, v210, s[74:75]                // 000000008890: D100001D 012BA5D0
	v_and_or_b32 v171, v29, v209, v28                          // 000000008898: D20100AB 0473A31D
	v_mov_b32_e32 v30, v184                                    // 0000000088A0: 7E3C03B8
	v_mov_b32_e32 v31, v185                                    // 0000000088A4: 7E3E03B9
	v_cmp_u_f32_e64 s[74:75], v30, v30                         // 0000000088A8: D048004A 00023D1E
	v_bfe_u32 v208, v30, 16, 1                                 // 0000000088B0: D1C800D0 0205211E
	v_add3_u32 v208, v30, v208, v211                           // 0000000088B8: D1FF00D0 074FA11E
	v_cndmask_b32_e64 v28, v208, v210, s[74:75]                // 0000000088C0: D100001C 012BA5D0
	v_lshrrev_b32_e32 v28, 16, v28                             // 0000000088C8: 20383890
	v_cmp_u_f32_e64 s[74:75], v31, v31                         // 0000000088CC: D048004A 00023F1F
	v_bfe_u32 v208, v31, 16, 1                                 // 0000000088D4: D1C800D0 0205211F
	v_add3_u32 v208, v31, v208, v211                           // 0000000088DC: D1FF00D0 074FA11F
	v_cndmask_b32_e64 v29, v208, v210, s[74:75]                // 0000000088E4: D100001D 012BA5D0
	v_and_or_b32 v172, v29, v209, v28                          // 0000000088EC: D20100AC 0473A31D
	v_mov_b32_e32 v30, v186                                    // 0000000088F4: 7E3C03BA
	v_mov_b32_e32 v31, v187                                    // 0000000088F8: 7E3E03BB
	v_cmp_u_f32_e64 s[74:75], v30, v30                         // 0000000088FC: D048004A 00023D1E
	v_bfe_u32 v208, v30, 16, 1                                 // 000000008904: D1C800D0 0205211E
	v_add3_u32 v208, v30, v208, v211                           // 00000000890C: D1FF00D0 074FA11E
	v_cndmask_b32_e64 v28, v208, v210, s[74:75]                // 000000008914: D100001C 012BA5D0
	v_lshrrev_b32_e32 v28, 16, v28                             // 00000000891C: 20383890
	v_cmp_u_f32_e64 s[74:75], v31, v31                         // 000000008920: D048004A 00023F1F
	v_bfe_u32 v208, v31, 16, 1                                 // 000000008928: D1C800D0 0205211F
	v_add3_u32 v208, v31, v208, v211                           // 000000008930: D1FF00D0 074FA11F
	v_cndmask_b32_e64 v29, v208, v210, s[74:75]                // 000000008938: D100001D 012BA5D0
	v_and_or_b32 v173, v29, v209, v28                          // 000000008940: D20100AD 0473A31D
	v_mov_b32_e32 v30, v188                                    // 000000008948: 7E3C03BC
	v_mov_b32_e32 v31, v189                                    // 00000000894C: 7E3E03BD
	v_cmp_u_f32_e64 s[74:75], v30, v30                         // 000000008950: D048004A 00023D1E
	v_bfe_u32 v208, v30, 16, 1                                 // 000000008958: D1C800D0 0205211E
	v_add3_u32 v208, v30, v208, v211                           // 000000008960: D1FF00D0 074FA11E
	v_cndmask_b32_e64 v28, v208, v210, s[74:75]                // 000000008968: D100001C 012BA5D0
	v_lshrrev_b32_e32 v28, 16, v28                             // 000000008970: 20383890
	v_cmp_u_f32_e64 s[74:75], v31, v31                         // 000000008974: D048004A 00023F1F
	v_bfe_u32 v208, v31, 16, 1                                 // 00000000897C: D1C800D0 0205211F
	v_add3_u32 v208, v31, v208, v211                           // 000000008984: D1FF00D0 074FA11F
	v_cndmask_b32_e64 v29, v208, v210, s[74:75]                // 00000000898C: D100001D 012BA5D0
	v_and_or_b32 v174, v29, v209, v28                          // 000000008994: D20100AE 0473A31D
	v_mov_b32_e32 v30, v190                                    // 00000000899C: 7E3C03BE
	v_mov_b32_e32 v31, v191                                    // 0000000089A0: 7E3E03BF
	v_cmp_u_f32_e64 s[74:75], v30, v30                         // 0000000089A4: D048004A 00023D1E
	v_bfe_u32 v208, v30, 16, 1                                 // 0000000089AC: D1C800D0 0205211E
	v_add3_u32 v208, v30, v208, v211                           // 0000000089B4: D1FF00D0 074FA11E
	v_cndmask_b32_e64 v28, v208, v210, s[74:75]                // 0000000089BC: D100001C 012BA5D0
	v_lshrrev_b32_e32 v28, 16, v28                             // 0000000089C4: 20383890
	v_cmp_u_f32_e64 s[74:75], v31, v31                         // 0000000089C8: D048004A 00023F1F
	v_bfe_u32 v208, v31, 16, 1                                 // 0000000089D0: D1C800D0 0205211F
	v_add3_u32 v208, v31, v208, v211                           // 0000000089D8: D1FF00D0 074FA11F
	v_cndmask_b32_e64 v29, v208, v210, s[74:75]                // 0000000089E0: D100001D 012BA5D0
	v_and_or_b32 v175, v29, v209, v28                          // 0000000089E8: D20100AF 0473A31D
	v_mov_b32_e32 v30, v192                                    // 0000000089F0: 7E3C03C0
	v_mov_b32_e32 v31, v193                                    // 0000000089F4: 7E3E03C1
	v_cmp_u_f32_e64 s[74:75], v30, v30                         // 0000000089F8: D048004A 00023D1E
	v_bfe_u32 v208, v30, 16, 1                                 // 000000008A00: D1C800D0 0205211E
	v_add3_u32 v208, v30, v208, v211                           // 000000008A08: D1FF00D0 074FA11E
	v_cndmask_b32_e64 v28, v208, v210, s[74:75]                // 000000008A10: D100001C 012BA5D0
	v_lshrrev_b32_e32 v28, 16, v28                             // 000000008A18: 20383890
	v_cmp_u_f32_e64 s[74:75], v31, v31                         // 000000008A1C: D048004A 00023F1F
	v_bfe_u32 v208, v31, 16, 1                                 // 000000008A24: D1C800D0 0205211F
	v_add3_u32 v208, v31, v208, v211                           // 000000008A2C: D1FF00D0 074FA11F
	v_cndmask_b32_e64 v29, v208, v210, s[74:75]                // 000000008A34: D100001D 012BA5D0
	v_and_or_b32 v176, v29, v209, v28                          // 000000008A3C: D20100B0 0473A31D
	v_mov_b32_e32 v30, v194                                    // 000000008A44: 7E3C03C2
	v_mov_b32_e32 v31, v195                                    // 000000008A48: 7E3E03C3
	v_cmp_u_f32_e64 s[74:75], v30, v30                         // 000000008A4C: D048004A 00023D1E
	v_bfe_u32 v208, v30, 16, 1                                 // 000000008A54: D1C800D0 0205211E
	v_add3_u32 v208, v30, v208, v211                           // 000000008A5C: D1FF00D0 074FA11E
	v_cndmask_b32_e64 v28, v208, v210, s[74:75]                // 000000008A64: D100001C 012BA5D0
	v_lshrrev_b32_e32 v28, 16, v28                             // 000000008A6C: 20383890
	v_cmp_u_f32_e64 s[74:75], v31, v31                         // 000000008A70: D048004A 00023F1F
	v_bfe_u32 v208, v31, 16, 1                                 // 000000008A78: D1C800D0 0205211F
	v_add3_u32 v208, v31, v208, v211                           // 000000008A80: D1FF00D0 074FA11F
	v_cndmask_b32_e64 v29, v208, v210, s[74:75]                // 000000008A88: D100001D 012BA5D0
	v_and_or_b32 v177, v29, v209, v28                          // 000000008A90: D20100B1 0473A31D
	v_mov_b32_e32 v30, v196                                    // 000000008A98: 7E3C03C4
	v_mov_b32_e32 v31, v197                                    // 000000008A9C: 7E3E03C5
	v_cmp_u_f32_e64 s[74:75], v30, v30                         // 000000008AA0: D048004A 00023D1E
	v_bfe_u32 v208, v30, 16, 1                                 // 000000008AA8: D1C800D0 0205211E
	v_add3_u32 v208, v30, v208, v211                           // 000000008AB0: D1FF00D0 074FA11E
	v_cndmask_b32_e64 v28, v208, v210, s[74:75]                // 000000008AB8: D100001C 012BA5D0
	v_lshrrev_b32_e32 v28, 16, v28                             // 000000008AC0: 20383890
	v_cmp_u_f32_e64 s[74:75], v31, v31                         // 000000008AC4: D048004A 00023F1F
	v_bfe_u32 v208, v31, 16, 1                                 // 000000008ACC: D1C800D0 0205211F
	v_add3_u32 v208, v31, v208, v211                           // 000000008AD4: D1FF00D0 074FA11F
	v_cndmask_b32_e64 v29, v208, v210, s[74:75]                // 000000008ADC: D100001D 012BA5D0
	v_and_or_b32 v178, v29, v209, v28                          // 000000008AE4: D20100B2 0473A31D
	v_mov_b32_e32 v30, v198                                    // 000000008AEC: 7E3C03C6
	v_mov_b32_e32 v31, v199                                    // 000000008AF0: 7E3E03C7
	v_cmp_u_f32_e64 s[74:75], v30, v30                         // 000000008AF4: D048004A 00023D1E
	v_bfe_u32 v208, v30, 16, 1                                 // 000000008AFC: D1C800D0 0205211E
	v_add3_u32 v208, v30, v208, v211                           // 000000008B04: D1FF00D0 074FA11E
	v_cndmask_b32_e64 v28, v208, v210, s[74:75]                // 000000008B0C: D100001C 012BA5D0
	v_lshrrev_b32_e32 v28, 16, v28                             // 000000008B14: 20383890
	v_cmp_u_f32_e64 s[74:75], v31, v31                         // 000000008B18: D048004A 00023F1F
	v_bfe_u32 v208, v31, 16, 1                                 // 000000008B20: D1C800D0 0205211F
	v_add3_u32 v208, v31, v208, v211                           // 000000008B28: D1FF00D0 074FA11F
	v_cndmask_b32_e64 v29, v208, v210, s[74:75]                // 000000008B30: D100001D 012BA5D0
	v_and_or_b32 v179, v29, v209, v28                          // 000000008B38: D20100B3 0473A31D
	v_mov_b32_e32 v30, v200                                    // 000000008B40: 7E3C03C8
	v_mov_b32_e32 v31, v201                                    // 000000008B44: 7E3E03C9
	v_cmp_u_f32_e64 s[74:75], v30, v30                         // 000000008B48: D048004A 00023D1E
	v_bfe_u32 v208, v30, 16, 1                                 // 000000008B50: D1C800D0 0205211E
	v_add3_u32 v208, v30, v208, v211                           // 000000008B58: D1FF00D0 074FA11E
	v_cndmask_b32_e64 v28, v208, v210, s[74:75]                // 000000008B60: D100001C 012BA5D0
	v_lshrrev_b32_e32 v28, 16, v28                             // 000000008B68: 20383890
	v_cmp_u_f32_e64 s[74:75], v31, v31                         // 000000008B6C: D048004A 00023F1F
	v_bfe_u32 v208, v31, 16, 1                                 // 000000008B74: D1C800D0 0205211F
	v_add3_u32 v208, v31, v208, v211                           // 000000008B7C: D1FF00D0 074FA11F
	v_cndmask_b32_e64 v29, v208, v210, s[74:75]                // 000000008B84: D100001D 012BA5D0
	v_and_or_b32 v180, v29, v209, v28                          // 000000008B8C: D20100B4 0473A31D
	v_mov_b32_e32 v30, v202                                    // 000000008B94: 7E3C03CA
	v_mov_b32_e32 v31, v203                                    // 000000008B98: 7E3E03CB
	v_cmp_u_f32_e64 s[74:75], v30, v30                         // 000000008B9C: D048004A 00023D1E
	v_bfe_u32 v208, v30, 16, 1                                 // 000000008BA4: D1C800D0 0205211E
	v_add3_u32 v208, v30, v208, v211                           // 000000008BAC: D1FF00D0 074FA11E
	v_cndmask_b32_e64 v28, v208, v210, s[74:75]                // 000000008BB4: D100001C 012BA5D0
	v_lshrrev_b32_e32 v28, 16, v28                             // 000000008BBC: 20383890
	v_cmp_u_f32_e64 s[74:75], v31, v31                         // 000000008BC0: D048004A 00023F1F
	v_bfe_u32 v208, v31, 16, 1                                 // 000000008BC8: D1C800D0 0205211F
	v_add3_u32 v208, v31, v208, v211                           // 000000008BD0: D1FF00D0 074FA11F
	v_cndmask_b32_e64 v29, v208, v210, s[74:75]                // 000000008BD8: D100001D 012BA5D0
	v_and_or_b32 v181, v29, v209, v28                          // 000000008BE0: D20100B5 0473A31D
	v_mov_b32_e32 v30, v204                                    // 000000008BE8: 7E3C03CC
	v_mov_b32_e32 v31, v205                                    // 000000008BEC: 7E3E03CD
	v_cmp_u_f32_e64 s[74:75], v30, v30                         // 000000008BF0: D048004A 00023D1E
	v_bfe_u32 v208, v30, 16, 1                                 // 000000008BF8: D1C800D0 0205211E
	v_add3_u32 v208, v30, v208, v211                           // 000000008C00: D1FF00D0 074FA11E
	v_cndmask_b32_e64 v28, v208, v210, s[74:75]                // 000000008C08: D100001C 012BA5D0
	v_lshrrev_b32_e32 v28, 16, v28                             // 000000008C10: 20383890
	v_cmp_u_f32_e64 s[74:75], v31, v31                         // 000000008C14: D048004A 00023F1F
	v_bfe_u32 v208, v31, 16, 1                                 // 000000008C1C: D1C800D0 0205211F
	v_add3_u32 v208, v31, v208, v211                           // 000000008C24: D1FF00D0 074FA11F
	v_cndmask_b32_e64 v29, v208, v210, s[74:75]                // 000000008C2C: D100001D 012BA5D0
	v_and_or_b32 v182, v29, v209, v28                          // 000000008C34: D20100B6 0473A31D
	v_mov_b32_e32 v30, v206                                    // 000000008C3C: 7E3C03CE
	v_mov_b32_e32 v31, v207                                    // 000000008C40: 7E3E03CF
	v_cmp_u_f32_e64 s[74:75], v30, v30                         // 000000008C44: D048004A 00023D1E
	v_bfe_u32 v208, v30, 16, 1                                 // 000000008C4C: D1C800D0 0205211E
	v_add3_u32 v208, v30, v208, v211                           // 000000008C54: D1FF00D0 074FA11E
	v_cndmask_b32_e64 v28, v208, v210, s[74:75]                // 000000008C5C: D100001C 012BA5D0
	v_lshrrev_b32_e32 v28, 16, v28                             // 000000008C64: 20383890
	v_cmp_u_f32_e64 s[74:75], v31, v31                         // 000000008C68: D048004A 00023F1F
	v_bfe_u32 v208, v31, 16, 1                                 // 000000008C70: D1C800D0 0205211F
	v_add3_u32 v208, v31, v208, v211                           // 000000008C78: D1FF00D0 074FA11F
	v_cndmask_b32_e64 v29, v208, v210, s[74:75]                // 000000008C80: D100001D 012BA5D0
	v_and_or_b32 v183, v29, v209, v28                          // 000000008C88: D20100B7 0473A31D
	ds_write_b64 v25, v[160:161]                               // 000000008C90: D89A0000 0000A019
	ds_write_b64 v25, v[162:163] offset:544                    // 000000008C98: D89A0220 0000A219
	ds_write_b64 v25, v[164:165] offset:1088                   // 000000008CA0: D89A0440 0000A419
	ds_write_b64 v25, v[166:167] offset:1632                   // 000000008CA8: D89A0660 0000A619
	ds_write_b64 v25, v[168:169] offset:2176                   // 000000008CB0: D89A0880 0000A819
	ds_write_b64 v25, v[170:171] offset:2720                   // 000000008CB8: D89A0AA0 0000AA19
	ds_write_b64 v25, v[172:173] offset:3264                   // 000000008CC0: D89A0CC0 0000AC19
	ds_write_b64 v25, v[174:175] offset:3808                   // 000000008CC8: D89A0EE0 0000AE19
	ds_write_b64 v25, v[176:177] offset:4352                   // 000000008CD0: D89A1100 0000B019
	ds_write_b64 v25, v[178:179] offset:4896                   // 000000008CD8: D89A1320 0000B219
	ds_write_b64 v25, v[180:181] offset:5440                   // 000000008CE0: D89A1540 0000B419
	ds_write_b64 v25, v[182:183] offset:5984                   // 000000008CE8: D89A1760 0000B619
	s_waitcnt lgkmcnt(0)                                       // 000000008CF0: BF8CC07F
	s_barrier                                                  // 000000008CF4: BF8A0000
	ds_read_b64 v[160:161], v24                                // 000000008CF8: D8EC0000 A0000018
	ds_read_b64 v[162:163], v24 offset:128                     // 000000008D00: D8EC0080 A2000018
	ds_read_b64 v[164:165], v24 offset:64                      // 000000008D08: D8EC0040 A4000018
	ds_read_b64 v[166:167], v24 offset:192                     // 000000008D10: D8EC00C0 A6000018
	ds_read_b64 v[168:169], v24 offset:2176                    // 000000008D18: D8EC0880 A8000018
	ds_read_b64 v[170:171], v24 offset:2304                    // 000000008D20: D8EC0900 AA000018
	ds_read_b64 v[172:173], v24 offset:2240                    // 000000008D28: D8EC08C0 AC000018
	ds_read_b64 v[174:175], v24 offset:2368                    // 000000008D30: D8EC0940 AE000018
	ds_read_b64 v[176:177], v24 offset:4352                    // 000000008D38: D8EC1100 B0000018
	ds_read_b64 v[178:179], v24 offset:4480                    // 000000008D40: D8EC1180 B2000018
	ds_read_b64 v[180:181], v24 offset:4416                    // 000000008D48: D8EC1140 B4000018
	ds_read_b64 v[182:183], v24 offset:4544                    // 000000008D50: D8EC11C0 B6000018
	s_waitcnt lgkmcnt(0)                                       // 000000008D58: BF8CC07F
	buffer_store_dwordx4 v[160:163], v5, s[40:43], 0 idxen     // 000000008D5C: E07C2000 800AA005
	v_add_u32_e32 v5, 32, v5                                   // 000000008D64: 680A0AA0
	buffer_store_dwordx4 v[164:167], v6, s[40:43], 0 idxen     // 000000008D68: E07C2000 800AA406
	v_add_u32_e32 v6, 32, v6                                   // 000000008D70: 680C0CA0
	buffer_store_dwordx4 v[168:171], v5, s[40:43], 0 idxen     // 000000008D74: E07C2000 800AA805
	v_add_u32_e32 v5, 32, v5                                   // 000000008D7C: 680A0AA0
	buffer_store_dwordx4 v[172:175], v6, s[40:43], 0 idxen     // 000000008D80: E07C2000 800AAC06
	v_add_u32_e32 v6, 32, v6                                   // 000000008D88: 680C0CA0
	s_mov_b64 exec, s[90:91]                                   // 000000008D8C: BEFE015A
	buffer_store_dwordx4 v[176:179], v5, s[40:43], 0 idxen     // 000000008D90: E07C2000 800AB005
	s_mov_b64 exec, s[86:87]                                   // 000000008D98: BEFE0156
	v_add_u32_e32 v5, 32, v5                                   // 000000008D9C: 680A0AA0
	s_mov_b64 exec, s[90:91]                                   // 000000008DA0: BEFE015A
	buffer_store_dwordx4 v[180:183], v6, s[40:43], 0 idxen     // 000000008DA4: E07C2000 800AB406
	s_mov_b64 exec, s[86:87]                                   // 000000008DAC: BEFE0156
	v_add_u32_e32 v6, 32, v6                                   // 000000008DB0: 680C0CA0
	s_waitcnt vmcnt(0) expcnt(0) lgkmcnt(0)                    // 000000008DB4: BF8C0000
	s_endpgm                                                   // 000000008DB8: BF810000
